;; amdgpu-corpus repo=ROCm/rocFFT kind=compiled arch=gfx90a opt=O3
	.text
	.amdgcn_target "amdgcn-amd-amdhsa--gfx90a"
	.amdhsa_code_object_version 6
	.protected	fft_rtc_back_len289_factors_17_17_wgs_119_tpt_17_dp_ip_CI_sbcc_twdbase8_3step_dirReg_intrinsicReadWrite ; -- Begin function fft_rtc_back_len289_factors_17_17_wgs_119_tpt_17_dp_ip_CI_sbcc_twdbase8_3step_dirReg_intrinsicReadWrite
	.globl	fft_rtc_back_len289_factors_17_17_wgs_119_tpt_17_dp_ip_CI_sbcc_twdbase8_3step_dirReg_intrinsicReadWrite
	.p2align	8
	.type	fft_rtc_back_len289_factors_17_17_wgs_119_tpt_17_dp_ip_CI_sbcc_twdbase8_3step_dirReg_intrinsicReadWrite,@function
fft_rtc_back_len289_factors_17_17_wgs_119_tpt_17_dp_ip_CI_sbcc_twdbase8_3step_dirReg_intrinsicReadWrite: ; @fft_rtc_back_len289_factors_17_17_wgs_119_tpt_17_dp_ip_CI_sbcc_twdbase8_3step_dirReg_intrinsicReadWrite
; %bb.0:
	s_load_dwordx4 s[0:3], s[4:5], 0x18
	s_mov_b32 s7, 0
	s_mov_b64 s[22:23], 0
	s_waitcnt lgkmcnt(0)
	s_load_dwordx2 s[10:11], s[0:1], 0x8
	s_waitcnt lgkmcnt(0)
	s_add_u32 s8, s10, -1
	s_addc_u32 s9, s11, -1
	s_add_u32 s12, 0, 0x92481000
	s_addc_u32 s13, 0, 0x64
	s_mul_hi_u32 s15, s12, -7
	s_add_i32 s13, s13, 0x249248c0
	s_sub_i32 s15, s15, s12
	s_mul_i32 s18, s13, -7
	s_mul_i32 s14, s12, -7
	s_add_i32 s15, s15, s18
	s_mul_hi_u32 s16, s13, s14
	s_mul_i32 s17, s13, s14
	s_mul_i32 s19, s12, s15
	s_mul_hi_u32 s14, s12, s14
	s_mul_hi_u32 s18, s12, s15
	s_add_u32 s14, s14, s19
	s_addc_u32 s18, 0, s18
	s_add_u32 s14, s14, s17
	s_mul_hi_u32 s19, s13, s15
	s_addc_u32 s14, s18, s16
	s_addc_u32 s16, s19, 0
	s_mul_i32 s15, s13, s15
	s_add_u32 s14, s14, s15
	v_mov_b32_e32 v1, s14
	s_addc_u32 s15, 0, s16
	v_add_co_u32_e32 v1, vcc, s12, v1
	s_cmp_lg_u64 vcc, 0
	s_addc_u32 s12, s13, s15
	v_readfirstlane_b32 s15, v1
	s_mul_i32 s14, s8, s12
	s_mul_hi_u32 s16, s8, s15
	s_mul_hi_u32 s13, s8, s12
	s_add_u32 s14, s16, s14
	s_addc_u32 s13, 0, s13
	s_mul_hi_u32 s17, s9, s15
	s_mul_i32 s15, s9, s15
	s_add_u32 s14, s14, s15
	s_mul_hi_u32 s16, s9, s12
	s_addc_u32 s13, s13, s17
	s_addc_u32 s14, s16, 0
	s_mul_i32 s12, s9, s12
	s_add_u32 s12, s13, s12
	s_addc_u32 s13, 0, s14
	s_add_u32 s14, s12, 1
	s_addc_u32 s15, s13, 0
	s_add_u32 s16, s12, 2
	s_mul_i32 s18, s13, 7
	s_mul_hi_u32 s19, s12, 7
	s_addc_u32 s17, s13, 0
	s_add_i32 s19, s19, s18
	s_mul_i32 s18, s12, 7
	v_mov_b32_e32 v1, s18
	v_sub_co_u32_e32 v1, vcc, s8, v1
	s_cmp_lg_u64 vcc, 0
	s_subb_u32 s8, s9, s19
	v_subrev_co_u32_e32 v2, vcc, 7, v1
	s_cmp_lg_u64 vcc, 0
	s_subb_u32 s9, s8, 0
	v_readfirstlane_b32 s18, v2
	s_cmp_gt_u32 s18, 6
	s_cselect_b32 s18, -1, 0
	s_cmp_eq_u32 s9, 0
	s_cselect_b32 s9, s18, -1
	s_cmp_lg_u32 s9, 0
	s_cselect_b32 s9, s16, s14
	s_cselect_b32 s14, s17, s15
	v_readfirstlane_b32 s15, v1
	s_cmp_gt_u32 s15, 6
	s_cselect_b32 s15, -1, 0
	s_cmp_eq_u32 s8, 0
	s_cselect_b32 s8, s15, -1
	s_cmp_lg_u32 s8, 0
	s_cselect_b32 s9, s9, s12
	s_cselect_b32 s8, s14, s13
	s_add_u32 s20, s9, 1
	s_addc_u32 s21, s8, 0
	v_pk_mov_b32 v[2:3], s[20:21], s[20:21] op_sel:[0,1]
	v_cmp_lt_u64_e32 vcc, s[6:7], v[2:3]
	s_cbranch_vccnz .LBB0_2
; %bb.1:
	v_cvt_f32_u32_e32 v1, s20
	s_sub_i32 s8, 0, s20
	s_mov_b32 s23, s7
	v_rcp_iflag_f32_e32 v1, v1
	v_mul_f32_e32 v1, 0x4f7ffffe, v1
	v_cvt_u32_f32_e32 v1, v1
	v_readfirstlane_b32 s9, v1
	s_mul_i32 s8, s8, s9
	s_mul_hi_u32 s8, s9, s8
	s_add_i32 s9, s9, s8
	s_mul_hi_u32 s8, s6, s9
	s_mul_i32 s12, s8, s20
	s_sub_i32 s12, s6, s12
	s_add_i32 s9, s8, 1
	s_sub_i32 s13, s12, s20
	s_cmp_ge_u32 s12, s20
	s_cselect_b32 s8, s9, s8
	s_cselect_b32 s12, s13, s12
	s_add_i32 s9, s8, 1
	s_cmp_ge_u32 s12, s20
	s_cselect_b32 s22, s9, s8
.LBB0_2:
	s_load_dwordx2 s[8:9], s[4:5], 0x58
	s_load_dwordx4 s[12:15], s[2:3], 0x0
	s_load_dwordx2 s[58:59], s[4:5], 0x0
	s_load_dwordx4 s[16:19], s[4:5], 0x8
	s_mul_i32 s4, s22, s21
	s_mul_hi_u32 s5, s22, s20
	s_add_i32 s5, s5, s4
	s_mul_i32 s4, s22, s20
	s_sub_u32 s33, s6, s4
	s_subb_u32 s4, 0, s5
	s_mul_i32 s4, s4, 7
	s_waitcnt lgkmcnt(0)
	s_mul_hi_u32 s13, s33, 7
	s_add_i32 s13, s13, s4
	s_mul_i32 s33, s33, 7
	s_mul_i32 s4, s14, s13
	s_mul_hi_u32 s5, s14, s33
	s_add_i32 s4, s5, s4
	s_mul_i32 s5, s15, s33
	s_add_i32 s36, s4, s5
	v_cmp_lt_u64_e64 s[4:5], s[18:19], 3
	s_mul_i32 s15, s14, s33
	s_and_b64 vcc, exec, s[4:5]
	s_cbranch_vccnz .LBB0_10
; %bb.3:
	s_add_u32 s4, s2, 16
	s_addc_u32 s5, s3, 0
	s_add_u32 s24, s0, 16
	s_addc_u32 s25, s1, 0
	s_mov_b64 s[26:27], 2
	s_mov_b32 s28, 0
	v_pk_mov_b32 v[2:3], s[18:19], s[18:19] op_sel:[0,1]
.LBB0_4:                                ; =>This Inner Loop Header: Depth=1
	s_load_dwordx2 s[30:31], s[24:25], 0x0
	s_waitcnt lgkmcnt(0)
	s_or_b64 s[0:1], s[22:23], s[30:31]
	s_mov_b32 s29, s1
	s_cmp_lg_u64 s[28:29], 0
	s_cbranch_scc0 .LBB0_9
; %bb.5:                                ;   in Loop: Header=BB0_4 Depth=1
	v_cvt_f32_u32_e32 v1, s30
	v_cvt_f32_u32_e32 v4, s31
	s_sub_u32 s0, 0, s30
	s_subb_u32 s1, 0, s31
	v_mac_f32_e32 v1, 0x4f800000, v4
	v_rcp_f32_e32 v1, v1
	v_mul_f32_e32 v1, 0x5f7ffffc, v1
	v_mul_f32_e32 v4, 0x2f800000, v1
	v_trunc_f32_e32 v4, v4
	v_mac_f32_e32 v1, 0xcf800000, v4
	v_cvt_u32_f32_e32 v4, v4
	v_cvt_u32_f32_e32 v1, v1
	v_readfirstlane_b32 s29, v4
	v_readfirstlane_b32 s34, v1
	s_mul_i32 s35, s0, s29
	s_mul_hi_u32 s38, s0, s34
	s_mul_i32 s37, s1, s34
	s_add_i32 s35, s38, s35
	s_mul_i32 s39, s0, s34
	s_add_i32 s35, s35, s37
	s_mul_hi_u32 s37, s34, s35
	s_mul_i32 s38, s34, s35
	s_mul_hi_u32 s34, s34, s39
	s_add_u32 s34, s34, s38
	s_addc_u32 s37, 0, s37
	s_mul_hi_u32 s40, s29, s39
	s_mul_i32 s39, s29, s39
	s_add_u32 s34, s34, s39
	s_mul_hi_u32 s38, s29, s35
	s_addc_u32 s34, s37, s40
	s_addc_u32 s37, s38, 0
	s_mul_i32 s35, s29, s35
	s_add_u32 s34, s34, s35
	s_addc_u32 s35, 0, s37
	v_add_co_u32_e32 v1, vcc, s34, v1
	s_cmp_lg_u64 vcc, 0
	s_addc_u32 s29, s29, s35
	v_readfirstlane_b32 s35, v1
	s_mul_i32 s34, s0, s29
	s_mul_hi_u32 s37, s0, s35
	s_add_i32 s34, s37, s34
	s_mul_i32 s1, s1, s35
	s_add_i32 s34, s34, s1
	s_mul_i32 s0, s0, s35
	s_mul_hi_u32 s37, s29, s0
	s_mul_i32 s38, s29, s0
	s_mul_i32 s40, s35, s34
	s_mul_hi_u32 s0, s35, s0
	s_mul_hi_u32 s39, s35, s34
	s_add_u32 s0, s0, s40
	s_addc_u32 s35, 0, s39
	s_add_u32 s0, s0, s38
	s_mul_hi_u32 s1, s29, s34
	s_addc_u32 s0, s35, s37
	s_addc_u32 s1, s1, 0
	s_mul_i32 s34, s29, s34
	s_add_u32 s0, s0, s34
	s_addc_u32 s1, 0, s1
	v_add_co_u32_e32 v1, vcc, s0, v1
	s_cmp_lg_u64 vcc, 0
	s_addc_u32 s0, s29, s1
	v_readfirstlane_b32 s34, v1
	s_mul_i32 s29, s22, s0
	s_mul_hi_u32 s35, s22, s34
	s_mul_hi_u32 s1, s22, s0
	s_add_u32 s29, s35, s29
	s_addc_u32 s1, 0, s1
	s_mul_hi_u32 s37, s23, s34
	s_mul_i32 s34, s23, s34
	s_add_u32 s29, s29, s34
	s_mul_hi_u32 s35, s23, s0
	s_addc_u32 s1, s1, s37
	s_addc_u32 s29, s35, 0
	s_mul_i32 s0, s23, s0
	s_add_u32 s34, s1, s0
	s_addc_u32 s29, 0, s29
	s_mul_i32 s0, s30, s29
	s_mul_hi_u32 s1, s30, s34
	s_add_i32 s0, s1, s0
	s_mul_i32 s1, s31, s34
	s_add_i32 s35, s0, s1
	s_mul_i32 s1, s30, s34
	v_mov_b32_e32 v1, s1
	s_sub_i32 s0, s23, s35
	v_sub_co_u32_e32 v1, vcc, s22, v1
	s_cmp_lg_u64 vcc, 0
	s_subb_u32 s37, s0, s31
	v_subrev_co_u32_e64 v4, s[0:1], s30, v1
	s_cmp_lg_u64 s[0:1], 0
	s_subb_u32 s0, s37, 0
	s_cmp_ge_u32 s0, s31
	v_readfirstlane_b32 s37, v4
	s_cselect_b32 s1, -1, 0
	s_cmp_ge_u32 s37, s30
	s_cselect_b32 s37, -1, 0
	s_cmp_eq_u32 s0, s31
	s_cselect_b32 s0, s37, s1
	s_add_u32 s1, s34, 1
	s_addc_u32 s37, s29, 0
	s_add_u32 s38, s34, 2
	s_addc_u32 s39, s29, 0
	s_cmp_lg_u32 s0, 0
	s_cselect_b32 s0, s38, s1
	s_cselect_b32 s1, s39, s37
	s_cmp_lg_u64 vcc, 0
	s_subb_u32 s35, s23, s35
	s_cmp_ge_u32 s35, s31
	v_readfirstlane_b32 s38, v1
	s_cselect_b32 s37, -1, 0
	s_cmp_ge_u32 s38, s30
	s_cselect_b32 s38, -1, 0
	s_cmp_eq_u32 s35, s31
	s_cselect_b32 s35, s38, s37
	s_cmp_lg_u32 s35, 0
	s_cselect_b32 s1, s1, s29
	s_cselect_b32 s0, s0, s34
	s_cbranch_execnz .LBB0_7
.LBB0_6:                                ;   in Loop: Header=BB0_4 Depth=1
	v_cvt_f32_u32_e32 v1, s30
	s_sub_i32 s0, 0, s30
	v_rcp_iflag_f32_e32 v1, v1
	v_mul_f32_e32 v1, 0x4f7ffffe, v1
	v_cvt_u32_f32_e32 v1, v1
	v_readfirstlane_b32 s1, v1
	s_mul_i32 s0, s0, s1
	s_mul_hi_u32 s0, s1, s0
	s_add_i32 s1, s1, s0
	s_mul_hi_u32 s0, s22, s1
	s_mul_i32 s29, s0, s30
	s_sub_i32 s29, s22, s29
	s_add_i32 s1, s0, 1
	s_sub_i32 s34, s29, s30
	s_cmp_ge_u32 s29, s30
	s_cselect_b32 s0, s1, s0
	s_cselect_b32 s29, s34, s29
	s_add_i32 s1, s0, 1
	s_cmp_ge_u32 s29, s30
	s_cselect_b32 s0, s1, s0
	s_mov_b32 s1, s28
.LBB0_7:                                ;   in Loop: Header=BB0_4 Depth=1
	s_mul_i32 s21, s30, s21
	s_mul_hi_u32 s29, s30, s20
	s_add_i32 s21, s29, s21
	s_mul_i32 s29, s31, s20
	s_add_i32 s21, s21, s29
	s_mul_i32 s29, s0, s31
	s_mul_hi_u32 s31, s0, s30
	s_load_dwordx2 s[34:35], s[4:5], 0x0
	s_add_i32 s29, s31, s29
	s_mul_i32 s31, s1, s30
	s_mul_i32 s20, s30, s20
	s_add_i32 s29, s29, s31
	s_mul_i32 s30, s0, s30
	s_sub_u32 s22, s22, s30
	s_subb_u32 s23, s23, s29
	s_waitcnt lgkmcnt(0)
	s_mul_i32 s23, s34, s23
	s_mul_hi_u32 s29, s34, s22
	s_add_i32 s23, s29, s23
	s_mul_i32 s29, s35, s22
	s_add_i32 s23, s23, s29
	s_mul_i32 s22, s34, s22
	s_add_u32 s15, s22, s15
	s_addc_u32 s36, s23, s36
	s_add_u32 s26, s26, 1
	s_addc_u32 s27, s27, 0
	;; [unrolled: 2-line block ×3, first 2 shown]
	s_add_u32 s24, s24, 8
	v_cmp_ge_u64_e32 vcc, s[26:27], v[2:3]
	s_addc_u32 s25, s25, 0
	s_cbranch_vccnz .LBB0_11
; %bb.8:                                ;   in Loop: Header=BB0_4 Depth=1
	s_mov_b64 s[22:23], s[0:1]
	s_branch .LBB0_4
.LBB0_9:                                ;   in Loop: Header=BB0_4 Depth=1
                                        ; implicit-def: $sgpr0_sgpr1
	s_branch .LBB0_6
.LBB0_10:
	v_pk_mov_b32 v[2:3], s[22:23], s[22:23] op_sel:[0,1]
	s_branch .LBB0_13
.LBB0_11:
	v_pk_mov_b32 v[2:3], s[20:21], s[20:21] op_sel:[0,1]
	v_cmp_lt_u64_e32 vcc, s[6:7], v[2:3]
	v_pk_mov_b32 v[2:3], 0, 0
	s_cbranch_vccnz .LBB0_13
; %bb.12:
	v_cvt_f32_u32_e32 v1, s20
	s_sub_i32 s0, 0, s20
	v_rcp_iflag_f32_e32 v1, v1
	v_mul_f32_e32 v1, 0x4f7ffffe, v1
	v_cvt_u32_f32_e32 v1, v1
	v_mul_lo_u32 v2, s0, v1
	v_mul_hi_u32 v2, v1, v2
	v_add_u32_e32 v1, v1, v2
	v_mul_hi_u32 v1, s6, v1
	v_mul_lo_u32 v3, v1, s20
	v_sub_u32_e32 v3, s6, v3
	v_add_u32_e32 v2, 1, v1
	v_subrev_u32_e32 v4, s20, v3
	v_cmp_le_u32_e32 vcc, s20, v3
	v_cndmask_b32_e32 v3, v3, v4, vcc
	v_cndmask_b32_e32 v1, v1, v2, vcc
	v_add_u32_e32 v2, 1, v1
	v_cmp_le_u32_e32 vcc, s20, v3
	v_cndmask_b32_e32 v2, v1, v2, vcc
.LBB0_13:
	s_lshl_b64 s[0:1], s[18:19], 3
	s_add_u32 s0, s2, s0
	s_addc_u32 s1, s3, s1
	s_load_dword s0, s[0:1], 0x0
	v_mul_u32_u24_e32 v1, 0x2493, v0
	v_lshrrev_b32_e32 v112, 16, v1
	v_mul_lo_u16_e32 v1, 7, v112
	v_sub_u16_e32 v113, v0, v1
	s_waitcnt lgkmcnt(0)
	v_mul_lo_u32 v1, s0, v2
	v_add_u32_e32 v4, s15, v1
	v_mov_b32_e32 v1, s13
	v_add_co_u32_e32 v110, vcc, s33, v113
	s_add_u32 s0, s33, 7
	v_addc_co_u32_e32 v111, vcc, 0, v1, vcc
	s_addc_u32 s1, s13, 0
	v_pk_mov_b32 v[2:3], s[10:11], s[10:11] op_sel:[0,1]
	v_cmp_le_u64_e32 vcc, s[0:1], v[2:3]
	v_lshlrev_b32_e32 v3, 4, v4
	v_mul_lo_u32 v1, s14, v113
	v_mul_lo_u32 v2, s12, v112
	v_cmp_gt_u64_e64 s[0:1], s[10:11], v[110:111]
	v_readfirstlane_b32 s13, v3
	v_add_u32_e32 v3, 17, v112
	v_add_lshl_u32 v2, v1, v2, 4
	s_or_b64 vcc, vcc, s[0:1]
	v_mul_lo_u32 v3, s12, v3
	v_cndmask_b32_e32 v2, -1, v2, vcc
	s_mov_b32 s11, 0x20000
	s_mov_b32 s10, -2
	v_add_lshl_u32 v3, v1, v3, 4
	v_cndmask_b32_e32 v3, -1, v3, vcc
	buffer_load_dwordx4 v[38:41], v2, s[8:11], s13 offen
	buffer_load_dwordx4 v[66:69], v3, s[8:11], s13 offen
	v_add_u32_e32 v2, 34, v112
	v_mul_lo_u32 v2, s12, v2
	v_add_u32_e32 v3, 51, v112
	v_add_lshl_u32 v2, v1, v2, 4
	v_mul_lo_u32 v3, s12, v3
	v_cndmask_b32_e32 v2, -1, v2, vcc
	v_add_lshl_u32 v3, v1, v3, 4
	v_cndmask_b32_e32 v3, -1, v3, vcc
	buffer_load_dwordx4 v[54:57], v2, s[8:11], s13 offen
	buffer_load_dwordx4 v[50:53], v3, s[8:11], s13 offen
	v_add_u32_e32 v2, 0x44, v112
	v_mul_lo_u32 v2, s12, v2
	v_add_u32_e32 v3, 0x55, v112
	v_add_lshl_u32 v2, v1, v2, 4
	v_mul_lo_u32 v3, s12, v3
	v_cndmask_b32_e32 v2, -1, v2, vcc
	;; [unrolled: 10-line block ×7, first 2 shown]
	v_add_lshl_u32 v3, v1, v3, 4
	v_cndmask_b32_e32 v3, -1, v3, vcc
	buffer_load_dwordx4 v[58:61], v2, s[8:11], s13 offen
	buffer_load_dwordx4 v[62:65], v3, s[8:11], s13 offen
	v_add_u32_e32 v2, 0x110, v112
	v_mul_lo_u32 v2, s12, v2
	v_add_lshl_u32 v2, v1, v2, 4
	v_cndmask_b32_e32 v2, -1, v2, vcc
	buffer_load_dwordx4 v[72:75], v2, s[8:11], s13 offen
	s_mov_b32 s30, 0x5d8e7cdc
	s_mov_b32 s26, 0x2a9d6da3
	;; [unrolled: 1-line block ×11, first 2 shown]
	s_waitcnt vmcnt(15)
	v_add_f64 v[2:3], v[38:39], v[66:67]
	v_add_f64 v[4:5], v[40:41], v[68:69]
	s_mov_b32 s28, 0x75d4884
	s_mov_b32 s19, 0xbfeca52d
	;; [unrolled: 1-line block ×6, first 2 shown]
	s_waitcnt vmcnt(14)
	v_add_f64 v[2:3], v[2:3], v[54:55]
	v_add_f64 v[4:5], v[4:5], v[56:57]
	s_waitcnt vmcnt(13)
	v_add_f64 v[2:3], v[2:3], v[50:51]
	v_add_f64 v[4:5], v[4:5], v[52:53]
	s_mov_b32 s14, 0xc61f0d01
	s_mov_b32 s23, 0xbfe9895b
	s_mov_b32 s24, 0x6ed5f1bb
	s_mov_b32 s39, 0xbfe0d888
	s_mov_b32 s48, 0x910ea3b9
	s_waitcnt vmcnt(12)
	v_add_f64 v[2:3], v[2:3], v[42:43]
	v_add_f64 v[4:5], v[4:5], v[44:45]
	s_waitcnt vmcnt(11)
	v_add_f64 v[2:3], v[2:3], v[30:31]
	v_add_f64 v[4:5], v[4:5], v[32:33]
	s_mov_b32 s51, 0xbfc7851a
	s_mov_b32 s52, 0x7faef3
	s_mov_b32 s35, 0x3fedd6d0
	s_mov_b32 s29, 0x3fe7a5f6
	s_mov_b32 s21, 0x3fdc86fa
	;; [unrolled: 11-line block ×6, first 2 shown]
	s_waitcnt vmcnt(2)
	v_add_f64 v[2:3], v[2:3], v[58:59]
	v_add_f64 v[4:5], v[4:5], v[60:61]
	s_waitcnt vmcnt(1)
	v_add_f64 v[2:3], v[2:3], v[62:63]
	v_add_f64 v[106:107], v[54:55], v[62:63]
	v_add_f64 v[54:55], v[54:55], -v[62:63]
	v_add_f64 v[62:63], v[50:51], v[58:59]
	s_waitcnt vmcnt(0)
	v_add_f64 v[92:93], v[68:69], -v[74:75]
	v_add_f64 v[88:89], v[66:67], v[72:73]
	v_add_f64 v[70:71], v[68:69], v[74:75]
	v_mul_f64 v[76:77], v[92:93], s[30:31]
	v_mul_f64 v[84:85], v[92:93], s[26:27]
	;; [unrolled: 1-line block ×6, first 2 shown]
	v_add_f64 v[50:51], v[50:51], -v[58:59]
	v_add_f64 v[58:59], v[42:43], v[46:47]
	v_add_f64 v[42:43], v[42:43], -v[46:47]
	v_mul_f64 v[46:47], v[92:93], s[38:39]
	v_mul_f64 v[92:93], v[92:93], s[50:51]
	v_add_f64 v[4:5], v[4:5], v[64:65]
	v_add_f64 v[2:3], v[2:3], v[72:73]
	v_add_f64 v[66:67], v[66:67], -v[72:73]
	v_fma_f64 v[72:73], s[34:35], v[88:89], v[76:77]
	v_mul_f64 v[68:69], v[70:71], s[34:35]
	v_fma_f64 v[76:77], v[88:89], s[34:35], -v[76:77]
	v_fma_f64 v[80:81], s[28:29], v[88:89], v[84:85]
	v_mul_f64 v[78:79], v[70:71], s[28:29]
	v_fma_f64 v[84:85], v[88:89], s[28:29], -v[84:85]
	v_fma_f64 v[86:87], s[20:21], v[88:89], v[90:91]
	v_fma_f64 v[90:91], v[88:89], s[20:21], -v[90:91]
	v_fma_f64 v[94:95], s[4:5], v[88:89], v[96:97]
	;; [unrolled: 2-line block ×4, first 2 shown]
	v_fma_f64 v[104:105], v[88:89], s[24:25], -v[104:105]
	v_add_f64 v[108:109], v[56:57], v[64:65]
	v_add_f64 v[56:57], v[56:57], -v[64:65]
	v_add_f64 v[64:65], v[52:53], v[60:61]
	v_add_f64 v[52:53], v[52:53], -v[60:61]
	;; [unrolled: 2-line block ×3, first 2 shown]
	v_fma_f64 v[48:49], s[48:49], v[88:89], v[46:47]
	v_fma_f64 v[46:47], v[88:89], s[48:49], -v[46:47]
	v_fma_f64 v[114:115], s[52:53], v[88:89], v[92:93]
	v_fma_f64 v[88:89], v[88:89], s[52:53], -v[92:93]
	v_mul_f64 v[92:93], v[70:71], s[20:21]
	v_mul_f64 v[118:119], v[70:71], s[4:5]
	;; [unrolled: 1-line block ×6, first 2 shown]
	s_mov_b32 s56, s50
	v_add_f64 v[4:5], v[4:5], v[74:75]
	v_fma_f64 v[74:75], s[36:37], v[66:67], v[68:69]
	v_fmac_f64_e32 v[68:69], s[30:31], v[66:67]
	v_fma_f64 v[82:83], s[0:1], v[66:67], v[78:79]
	v_fmac_f64_e32 v[78:79], s[26:27], v[66:67]
	;; [unrolled: 2-line block ×8, first 2 shown]
	v_add_f64 v[66:67], v[38:39], v[72:73]
	v_add_f64 v[72:73], v[40:41], v[74:75]
	;; [unrolled: 1-line block ×21, first 2 shown]
	v_mul_f64 v[70:71], v[56:57], s[26:27]
	v_add_f64 v[90:91], v[38:39], v[90:91]
	v_add_f64 v[94:95], v[38:39], v[94:95]
	;; [unrolled: 1-line block ×11, first 2 shown]
	v_fma_f64 v[88:89], s[28:29], v[106:107], v[70:71]
	v_add_f64 v[66:67], v[88:89], v[66:67]
	v_mul_f64 v[88:89], v[108:109], s[28:29]
	v_fma_f64 v[70:71], v[106:107], s[28:29], -v[70:71]
	v_fma_f64 v[134:135], s[0:1], v[54:55], v[88:89]
	v_add_f64 v[70:71], v[70:71], v[74:75]
	v_fmac_f64_e32 v[88:89], s[26:27], v[54:55]
	v_mul_f64 v[74:75], v[56:57], s[2:3]
	v_add_f64 v[68:69], v[88:89], v[68:69]
	v_fma_f64 v[88:89], s[4:5], v[106:107], v[74:75]
	v_add_f64 v[76:77], v[88:89], v[76:77]
	v_mul_f64 v[88:89], v[108:109], s[4:5]
	v_fma_f64 v[74:75], v[106:107], s[4:5], -v[74:75]
	v_add_f64 v[72:73], v[134:135], v[72:73]
	v_fma_f64 v[134:135], s[40:41], v[54:55], v[88:89]
	v_add_f64 v[74:75], v[74:75], v[82:83]
	v_fmac_f64_e32 v[88:89], s[2:3], v[54:55]
	v_mul_f64 v[82:83], v[56:57], s[22:23]
	v_add_f64 v[78:79], v[88:89], v[78:79]
	v_fma_f64 v[88:89], s[24:25], v[106:107], v[82:83]
	v_add_f64 v[84:85], v[88:89], v[84:85]
	v_mul_f64 v[88:89], v[108:109], s[24:25]
	v_fma_f64 v[82:83], v[106:107], s[24:25], -v[82:83]
	v_add_f64 v[80:81], v[134:135], v[80:81]
	v_fma_f64 v[134:135], s[46:47], v[54:55], v[88:89]
	v_add_f64 v[82:83], v[82:83], v[90:91]
	v_fmac_f64_e32 v[88:89], s[22:23], v[54:55]
	v_mul_f64 v[90:91], v[56:57], s[50:51]
	v_add_f64 v[88:89], v[88:89], v[92:93]
	v_fma_f64 v[92:93], s[52:53], v[106:107], v[90:91]
	v_add_f64 v[92:93], v[92:93], v[94:95]
	v_mul_f64 v[94:95], v[108:109], s[52:53]
	v_fma_f64 v[90:91], v[106:107], s[52:53], -v[90:91]
	v_add_f64 v[86:87], v[134:135], v[86:87]
	v_fma_f64 v[134:135], s[56:57], v[54:55], v[94:95]
	v_add_f64 v[90:91], v[90:91], v[96:97]
	v_fmac_f64_e32 v[94:95], s[50:51], v[54:55]
	v_mul_f64 v[96:97], v[56:57], s[54:55]
	v_add_f64 v[94:95], v[94:95], v[118:119]
	v_fma_f64 v[118:119], s[48:49], v[106:107], v[96:97]
	v_add_f64 v[98:99], v[118:119], v[98:99]
	v_mul_f64 v[118:119], v[108:109], s[48:49]
	v_add_f64 v[116:117], v[134:135], v[116:117]
	v_fma_f64 v[134:135], s[38:39], v[54:55], v[118:119]
	v_fma_f64 v[96:97], v[106:107], s[48:49], -v[96:97]
	v_fmac_f64_e32 v[118:119], s[54:55], v[54:55]
	v_add_f64 v[96:97], v[96:97], v[100:101]
	v_add_f64 v[100:101], v[118:119], v[122:123]
	v_mul_f64 v[118:119], v[56:57], s[44:45]
	v_fma_f64 v[122:123], s[14:15], v[106:107], v[118:119]
	v_add_f64 v[102:103], v[122:123], v[102:103]
	v_mul_f64 v[122:123], v[108:109], s[14:15]
	v_add_f64 v[120:121], v[134:135], v[120:121]
	v_fma_f64 v[134:135], s[6:7], v[54:55], v[122:123]
	v_fma_f64 v[118:119], v[106:107], s[14:15], -v[118:119]
	v_fmac_f64_e32 v[122:123], s[44:45], v[54:55]
	v_add_f64 v[104:105], v[118:119], v[104:105]
	v_add_f64 v[118:119], v[122:123], v[126:127]
	v_mul_f64 v[122:123], v[56:57], s[42:43]
	v_fma_f64 v[126:127], s[20:21], v[106:107], v[122:123]
	v_add_f64 v[48:49], v[126:127], v[48:49]
	v_mul_f64 v[126:127], v[108:109], s[20:21]
	v_add_f64 v[124:125], v[134:135], v[124:125]
	v_fma_f64 v[134:135], s[18:19], v[54:55], v[126:127]
	v_fma_f64 v[122:123], v[106:107], s[20:21], -v[122:123]
	v_fmac_f64_e32 v[126:127], s[42:43], v[54:55]
	v_mul_f64 v[56:57], v[56:57], s[36:37]
	v_add_f64 v[46:47], v[122:123], v[46:47]
	v_add_f64 v[122:123], v[126:127], v[130:131]
	v_fma_f64 v[126:127], s[34:35], v[106:107], v[56:57]
	v_mul_f64 v[108:109], v[108:109], s[34:35]
	v_add_f64 v[114:115], v[126:127], v[114:115]
	v_fma_f64 v[126:127], s[30:31], v[54:55], v[108:109]
	v_fma_f64 v[56:57], v[106:107], s[34:35], -v[56:57]
	v_fmac_f64_e32 v[108:109], s[36:37], v[54:55]
	v_mul_f64 v[54:55], v[52:53], s[18:19]
	v_add_f64 v[38:39], v[56:57], v[38:39]
	v_fma_f64 v[56:57], s[20:21], v[62:63], v[54:55]
	v_add_f64 v[56:57], v[56:57], v[66:67]
	v_mul_f64 v[66:67], v[64:65], s[20:21]
	v_fma_f64 v[106:107], s[42:43], v[50:51], v[66:67]
	v_fmac_f64_e32 v[66:67], s[18:19], v[50:51]
	v_fma_f64 v[54:55], v[62:63], s[20:21], -v[54:55]
	v_add_f64 v[66:67], v[66:67], v[68:69]
	v_mul_f64 v[68:69], v[52:53], s[22:23]
	v_add_f64 v[54:55], v[54:55], v[70:71]
	v_fma_f64 v[70:71], s[24:25], v[62:63], v[68:69]
	v_add_f64 v[70:71], v[70:71], v[76:77]
	v_mul_f64 v[76:77], v[64:65], s[24:25]
	v_add_f64 v[72:73], v[106:107], v[72:73]
	v_fma_f64 v[106:107], s[46:47], v[50:51], v[76:77]
	v_fma_f64 v[68:69], v[62:63], s[24:25], -v[68:69]
	v_fmac_f64_e32 v[76:77], s[22:23], v[50:51]
	v_add_f64 v[68:69], v[68:69], v[74:75]
	v_add_f64 v[74:75], v[76:77], v[78:79]
	v_mul_f64 v[76:77], v[52:53], s[56:57]
	v_fma_f64 v[78:79], s[52:53], v[62:63], v[76:77]
	v_add_f64 v[78:79], v[78:79], v[84:85]
	v_mul_f64 v[84:85], v[64:65], s[52:53]
	v_add_f64 v[80:81], v[106:107], v[80:81]
	v_fma_f64 v[106:107], s[50:51], v[50:51], v[84:85]
	v_fma_f64 v[76:77], v[62:63], s[52:53], -v[76:77]
	v_fmac_f64_e32 v[84:85], s[56:57], v[50:51]
	v_add_f64 v[76:77], v[76:77], v[82:83]
	v_add_f64 v[82:83], v[84:85], v[88:89]
	v_mul_f64 v[84:85], v[52:53], s[44:45]
	;; [unrolled: 10-line block ×4, first 2 shown]
	v_fma_f64 v[100:101], s[34:35], v[62:63], v[98:99]
	v_add_f64 v[100:101], v[100:101], v[102:103]
	v_mul_f64 v[102:103], v[64:65], s[34:35]
	v_fma_f64 v[98:99], v[62:63], s[34:35], -v[98:99]
	v_add_f64 v[106:107], v[106:107], v[116:117]
	v_fma_f64 v[116:117], s[36:37], v[50:51], v[102:103]
	v_add_f64 v[98:99], v[98:99], v[104:105]
	v_fmac_f64_e32 v[102:103], s[30:31], v[50:51]
	v_mul_f64 v[104:105], v[52:53], s[2:3]
	v_add_f64 v[102:103], v[102:103], v[118:119]
	v_fma_f64 v[118:119], s[4:5], v[62:63], v[104:105]
	v_add_f64 v[48:49], v[118:119], v[48:49]
	v_mul_f64 v[118:119], v[64:65], s[4:5]
	v_add_f64 v[108:109], v[108:109], v[120:121]
	v_fma_f64 v[120:121], s[40:41], v[50:51], v[118:119]
	v_fma_f64 v[104:105], v[62:63], s[4:5], -v[104:105]
	v_fmac_f64_e32 v[118:119], s[2:3], v[50:51]
	v_mul_f64 v[52:53], v[52:53], s[38:39]
	v_add_f64 v[46:47], v[104:105], v[46:47]
	v_add_f64 v[104:105], v[118:119], v[122:123]
	v_fma_f64 v[118:119], s[48:49], v[62:63], v[52:53]
	v_mul_f64 v[64:65], v[64:65], s[48:49]
	v_add_f64 v[114:115], v[118:119], v[114:115]
	v_fma_f64 v[118:119], s[54:55], v[50:51], v[64:65]
	v_fma_f64 v[52:53], v[62:63], s[48:49], -v[52:53]
	v_fmac_f64_e32 v[64:65], s[38:39], v[50:51]
	v_mul_f64 v[50:51], v[44:45], s[2:3]
	v_add_f64 v[38:39], v[52:53], v[38:39]
	v_fma_f64 v[52:53], s[4:5], v[58:59], v[50:51]
	v_add_f64 v[52:53], v[52:53], v[56:57]
	v_mul_f64 v[56:57], v[60:61], s[4:5]
	v_fma_f64 v[62:63], s[40:41], v[42:43], v[56:57]
	v_fma_f64 v[50:51], v[58:59], s[4:5], -v[50:51]
	v_fmac_f64_e32 v[56:57], s[2:3], v[42:43]
	v_add_f64 v[50:51], v[50:51], v[54:55]
	v_add_f64 v[54:55], v[56:57], v[66:67]
	v_mul_f64 v[56:57], v[44:45], s[50:51]
	v_add_f64 v[40:41], v[64:65], v[40:41]
	v_fma_f64 v[64:65], s[52:53], v[58:59], v[56:57]
	v_mul_f64 v[66:67], v[60:61], s[52:53]
	v_fma_f64 v[56:57], v[58:59], s[52:53], -v[56:57]
	v_add_f64 v[64:65], v[64:65], v[70:71]
	v_fma_f64 v[70:71], s[56:57], v[42:43], v[66:67]
	v_add_f64 v[56:57], v[56:57], v[68:69]
	v_fmac_f64_e32 v[66:67], s[50:51], v[42:43]
	v_mul_f64 v[68:69], v[44:45], s[44:45]
	v_add_f64 v[62:63], v[62:63], v[72:73]
	v_add_f64 v[66:67], v[66:67], v[74:75]
	v_fma_f64 v[72:73], s[14:15], v[58:59], v[68:69]
	v_mul_f64 v[74:75], v[60:61], s[14:15]
	v_fma_f64 v[68:69], v[58:59], s[14:15], -v[68:69]
	v_add_f64 v[72:73], v[72:73], v[78:79]
	v_fma_f64 v[78:79], s[6:7], v[42:43], v[74:75]
	v_add_f64 v[68:69], v[68:69], v[76:77]
	v_fmac_f64_e32 v[74:75], s[44:45], v[42:43]
	v_mul_f64 v[76:77], v[44:45], s[36:37]
	v_add_f64 v[70:71], v[70:71], v[80:81]
	;; [unrolled: 10-line block ×4, first 2 shown]
	v_fma_f64 v[96:97], s[48:49], v[58:59], v[92:93]
	v_add_f64 v[96:97], v[96:97], v[100:101]
	v_mul_f64 v[100:101], v[60:61], s[48:49]
	v_add_f64 v[86:87], v[86:87], v[106:107]
	v_fma_f64 v[106:107], s[54:55], v[42:43], v[100:101]
	v_fma_f64 v[92:93], v[58:59], s[48:49], -v[92:93]
	v_fmac_f64_e32 v[100:101], s[38:39], v[42:43]
	v_add_f64 v[92:93], v[92:93], v[98:99]
	v_add_f64 v[98:99], v[100:101], v[102:103]
	v_mul_f64 v[100:101], v[44:45], s[46:47]
	v_fma_f64 v[102:103], s[24:25], v[58:59], v[100:101]
	v_add_f64 v[48:49], v[102:103], v[48:49]
	v_mul_f64 v[102:103], v[60:61], s[24:25]
	v_add_f64 v[94:95], v[94:95], v[108:109]
	v_fma_f64 v[108:109], s[22:23], v[42:43], v[102:103]
	v_fma_f64 v[100:101], v[58:59], s[24:25], -v[100:101]
	v_fmac_f64_e32 v[102:103], s[46:47], v[42:43]
	v_mul_f64 v[44:45], v[44:45], s[0:1]
	v_add_f64 v[46:47], v[100:101], v[46:47]
	v_add_f64 v[100:101], v[102:103], v[104:105]
	v_fma_f64 v[102:103], s[28:29], v[58:59], v[44:45]
	v_fma_f64 v[44:45], v[58:59], s[28:29], -v[44:45]
	v_mul_f64 v[60:61], v[60:61], s[28:29]
	v_add_f64 v[38:39], v[44:45], v[38:39]
	v_add_f64 v[44:45], v[32:33], v[36:37]
	v_add_f64 v[32:33], v[32:33], -v[36:37]
	v_fma_f64 v[104:105], s[26:27], v[42:43], v[60:61]
	v_fmac_f64_e32 v[60:61], s[0:1], v[42:43]
	v_add_f64 v[42:43], v[30:31], v[34:35]
	v_add_f64 v[30:31], v[30:31], -v[34:35]
	v_mul_f64 v[34:35], v[32:33], s[6:7]
	v_fma_f64 v[36:37], s[14:15], v[42:43], v[34:35]
	v_add_f64 v[36:37], v[36:37], v[52:53]
	v_mul_f64 v[52:53], v[44:45], s[14:15]
	v_fma_f64 v[58:59], s[44:45], v[30:31], v[52:53]
	v_fma_f64 v[34:35], v[42:43], s[14:15], -v[34:35]
	v_fmac_f64_e32 v[52:53], s[6:7], v[30:31]
	v_add_f64 v[40:41], v[60:61], v[40:41]
	v_add_f64 v[34:35], v[34:35], v[50:51]
	;; [unrolled: 1-line block ×3, first 2 shown]
	v_mul_f64 v[52:53], v[32:33], s[54:55]
	v_mul_f64 v[60:61], v[44:45], s[48:49]
	v_add_f64 v[58:59], v[58:59], v[62:63]
	v_fma_f64 v[54:55], s[48:49], v[42:43], v[52:53]
	v_fma_f64 v[62:63], s[38:39], v[30:31], v[60:61]
	v_fma_f64 v[52:53], v[42:43], s[48:49], -v[52:53]
	v_fmac_f64_e32 v[60:61], s[54:55], v[30:31]
	v_add_f64 v[52:53], v[52:53], v[56:57]
	v_add_f64 v[56:57], v[60:61], v[66:67]
	v_mul_f64 v[60:61], v[32:33], s[0:1]
	v_add_f64 v[54:55], v[54:55], v[64:65]
	v_fma_f64 v[64:65], s[28:29], v[42:43], v[60:61]
	v_fma_f64 v[60:61], v[42:43], s[28:29], -v[60:61]
	v_add_f64 v[60:61], v[60:61], v[68:69]
	v_mul_f64 v[68:69], v[32:33], s[18:19]
	v_add_f64 v[64:65], v[64:65], v[72:73]
	v_mul_f64 v[66:67], v[44:45], s[28:29]
	v_fma_f64 v[72:73], s[20:21], v[42:43], v[68:69]
	v_fma_f64 v[68:69], v[42:43], s[20:21], -v[68:69]
	v_add_f64 v[62:63], v[62:63], v[70:71]
	v_fma_f64 v[70:71], s[26:27], v[30:31], v[66:67]
	v_fmac_f64_e32 v[66:67], s[0:1], v[30:31]
	v_add_f64 v[68:69], v[68:69], v[76:77]
	v_mul_f64 v[76:77], v[32:33], s[50:51]
	v_add_f64 v[66:67], v[66:67], v[74:75]
	v_add_f64 v[72:73], v[72:73], v[80:81]
	v_mul_f64 v[74:75], v[44:45], s[20:21]
	v_fma_f64 v[80:81], s[52:53], v[42:43], v[76:77]
	v_fma_f64 v[76:77], v[42:43], s[52:53], -v[76:77]
	v_add_f64 v[70:71], v[70:71], v[78:79]
	v_fma_f64 v[78:79], s[42:43], v[30:31], v[74:75]
	v_fmac_f64_e32 v[74:75], s[18:19], v[30:31]
	v_add_f64 v[76:77], v[76:77], v[84:85]
	v_mul_f64 v[84:85], v[32:33], s[40:41]
	v_add_f64 v[74:75], v[74:75], v[82:83]
	;; [unrolled: 10-line block ×3, first 2 shown]
	v_add_f64 v[88:89], v[88:89], v[96:97]
	v_mul_f64 v[90:91], v[44:45], s[4:5]
	v_fma_f64 v[96:97], s[34:35], v[42:43], v[92:93]
	v_add_f64 v[86:87], v[86:87], v[94:95]
	v_fma_f64 v[94:95], s[2:3], v[30:31], v[90:91]
	v_fmac_f64_e32 v[90:91], s[40:41], v[30:31]
	v_add_f64 v[48:49], v[96:97], v[48:49]
	v_mul_f64 v[96:97], v[44:45], s[34:35]
	v_add_f64 v[90:91], v[90:91], v[98:99]
	v_fma_f64 v[98:99], s[36:37], v[30:31], v[96:97]
	v_fma_f64 v[92:93], v[42:43], s[34:35], -v[92:93]
	v_fmac_f64_e32 v[96:97], s[30:31], v[30:31]
	v_mul_f64 v[44:45], v[44:45], s[24:25]
	v_add_f64 v[46:47], v[92:93], v[46:47]
	v_add_f64 v[92:93], v[96:97], v[100:101]
	v_mul_f64 v[32:33], v[32:33], s[22:23]
	v_fma_f64 v[100:101], s[46:47], v[30:31], v[44:45]
	v_fmac_f64_e32 v[44:45], s[22:23], v[30:31]
	v_fma_f64 v[96:97], s[24:25], v[42:43], v[32:33]
	v_fma_f64 v[32:33], v[42:43], s[24:25], -v[32:33]
	v_add_f64 v[30:31], v[44:45], v[40:41]
	v_add_f64 v[40:41], v[24:25], v[28:29]
	v_add_f64 v[24:25], v[24:25], -v[28:29]
	v_add_f64 v[32:33], v[32:33], v[38:39]
	v_add_f64 v[38:39], v[22:23], v[26:27]
	v_add_f64 v[22:23], v[22:23], -v[26:27]
	v_mul_f64 v[26:27], v[24:25], s[22:23]
	v_fma_f64 v[28:29], s[24:25], v[38:39], v[26:27]
	v_add_f64 v[28:29], v[28:29], v[36:37]
	v_mul_f64 v[36:37], v[40:41], s[24:25]
	v_fma_f64 v[42:43], s[46:47], v[22:23], v[36:37]
	v_fma_f64 v[26:27], v[38:39], s[24:25], -v[26:27]
	v_fmac_f64_e32 v[36:37], s[22:23], v[22:23]
	v_add_f64 v[26:27], v[26:27], v[34:35]
	v_add_f64 v[34:35], v[36:37], v[50:51]
	v_mul_f64 v[36:37], v[24:25], s[44:45]
	v_fma_f64 v[44:45], s[14:15], v[38:39], v[36:37]
	v_mul_f64 v[50:51], v[40:41], s[14:15]
	v_fma_f64 v[36:37], v[38:39], s[14:15], -v[36:37]
	v_add_f64 v[44:45], v[44:45], v[54:55]
	v_fma_f64 v[54:55], s[6:7], v[22:23], v[50:51]
	v_add_f64 v[36:37], v[36:37], v[52:53]
	v_fmac_f64_e32 v[50:51], s[44:45], v[22:23]
	v_mul_f64 v[52:53], v[24:25], s[30:31]
	v_add_f64 v[42:43], v[42:43], v[58:59]
	v_add_f64 v[50:51], v[50:51], v[56:57]
	v_fma_f64 v[56:57], s[34:35], v[38:39], v[52:53]
	v_mul_f64 v[58:59], v[40:41], s[34:35]
	v_fma_f64 v[52:53], v[38:39], s[34:35], -v[52:53]
	v_add_f64 v[54:55], v[54:55], v[62:63]
	v_fma_f64 v[62:63], s[36:37], v[22:23], v[58:59]
	v_add_f64 v[52:53], v[52:53], v[60:61]
	v_fmac_f64_e32 v[58:59], s[30:31], v[22:23]
	v_mul_f64 v[60:61], v[24:25], s[38:39]
	v_add_f64 v[56:57], v[56:57], v[64:65]
	v_add_f64 v[58:59], v[58:59], v[66:67]
	;; [unrolled: 10-line block ×3, first 2 shown]
	v_fma_f64 v[72:73], s[4:5], v[38:39], v[68:69]
	v_mul_f64 v[74:75], v[40:41], s[4:5]
	v_fma_f64 v[68:69], v[38:39], s[4:5], -v[68:69]
	v_add_f64 v[70:71], v[70:71], v[78:79]
	v_fma_f64 v[78:79], s[2:3], v[22:23], v[74:75]
	v_add_f64 v[68:69], v[68:69], v[76:77]
	v_mul_f64 v[76:77], v[24:25], s[26:27]
	v_add_f64 v[128:129], v[134:135], v[128:129]
	v_add_f64 v[126:127], v[126:127], v[132:133]
	;; [unrolled: 1-line block ×3, first 2 shown]
	v_fma_f64 v[78:79], s[28:29], v[38:39], v[76:77]
	v_add_f64 v[120:121], v[120:121], v[128:129]
	v_add_f64 v[118:119], v[118:119], v[126:127]
	;; [unrolled: 1-line block ×4, first 2 shown]
	v_mul_f64 v[78:79], v[40:41], s[28:29]
	v_fma_f64 v[76:77], v[38:39], s[28:29], -v[76:77]
	v_add_f64 v[116:117], v[116:117], v[124:125]
	v_add_f64 v[108:109], v[108:109], v[120:121]
	v_add_f64 v[104:105], v[104:105], v[118:119]
	v_add_f64 v[96:97], v[96:97], v[102:103]
	v_add_f64 v[72:73], v[72:73], v[80:81]
	v_fma_f64 v[80:81], s[0:1], v[22:23], v[78:79]
	v_add_f64 v[102:103], v[76:77], v[84:85]
	v_fmac_f64_e32 v[78:79], s[26:27], v[22:23]
	v_mul_f64 v[76:77], v[24:25], s[50:51]
	v_add_f64 v[118:119], v[16:17], -v[20:21]
	v_add_f64 v[106:107], v[106:107], v[116:117]
	v_add_f64 v[98:99], v[98:99], v[108:109]
	;; [unrolled: 1-line block ×3, first 2 shown]
	v_fma_f64 v[78:79], s[52:53], v[38:39], v[76:77]
	v_add_f64 v[108:109], v[14:15], v[18:19]
	v_add_f64 v[116:117], v[14:15], -v[18:19]
	v_mul_f64 v[14:15], v[118:119], s[38:39]
	v_add_f64 v[94:95], v[94:95], v[106:107]
	v_add_f64 v[48:49], v[78:79], v[48:49]
	v_mul_f64 v[78:79], v[40:41], s[52:53]
	v_add_f64 v[114:115], v[16:17], v[20:21]
	v_fma_f64 v[16:17], s[48:49], v[108:109], v[14:15]
	v_add_f64 v[94:95], v[80:81], v[94:95]
	v_fma_f64 v[80:81], s[56:57], v[22:23], v[78:79]
	v_add_f64 v[84:85], v[16:17], v[28:29]
	v_mul_f64 v[16:17], v[114:115], s[48:49]
	v_fma_f64 v[14:15], v[108:109], s[48:49], -v[14:15]
	v_add_f64 v[98:99], v[80:81], v[98:99]
	v_fmac_f64_e32 v[78:79], s[50:51], v[22:23]
	v_fma_f64 v[18:19], s[54:55], v[116:117], v[16:17]
	v_add_f64 v[80:81], v[14:15], v[26:27]
	v_fmac_f64_e32 v[16:17], s[38:39], v[116:117]
	v_mul_f64 v[14:15], v[118:119], s[42:43]
	v_fmac_f64_e32 v[74:75], s[40:41], v[22:23]
	v_fma_f64 v[76:77], v[38:39], s[52:53], -v[76:77]
	v_add_f64 v[92:93], v[78:79], v[92:93]
	v_mul_f64 v[24:25], v[24:25], s[42:43]
	v_add_f64 v[78:79], v[16:17], v[34:35]
	v_fma_f64 v[16:17], s[20:21], v[108:109], v[14:15]
	v_add_f64 v[74:75], v[74:75], v[82:83]
	v_add_f64 v[46:47], v[76:77], v[46:47]
	v_fma_f64 v[76:77], s[20:21], v[38:39], v[24:25]
	v_mul_f64 v[40:41], v[40:41], s[20:21]
	v_add_f64 v[82:83], v[18:19], v[42:43]
	v_add_f64 v[18:19], v[16:17], v[44:45]
	v_mul_f64 v[16:17], v[114:115], s[20:21]
	v_add_f64 v[96:97], v[76:77], v[96:97]
	v_fma_f64 v[76:77], s[18:19], v[22:23], v[40:41]
	v_fma_f64 v[24:25], v[38:39], s[20:21], -v[24:25]
	v_fmac_f64_e32 v[40:41], s[42:43], v[22:23]
	v_fma_f64 v[20:21], s[18:19], v[116:117], v[16:17]
	v_fmac_f64_e32 v[16:17], s[42:43], v[116:117]
	v_mul_f64 v[22:23], v[118:119], s[2:3]
	v_add_f64 v[100:101], v[100:101], v[104:105]
	v_add_f64 v[104:105], v[24:25], v[32:33]
	;; [unrolled: 1-line block ×4, first 2 shown]
	v_fma_f64 v[24:25], s[4:5], v[108:109], v[22:23]
	v_fma_f64 v[22:23], v[108:109], s[4:5], -v[22:23]
	v_mul_f64 v[30:31], v[118:119], s[46:47]
	v_mul_f64 v[50:51], v[118:119], s[50:51]
	v_add_f64 v[22:23], v[22:23], v[52:53]
	v_fma_f64 v[32:33], s[24:25], v[108:109], v[30:31]
	v_mul_f64 v[38:39], v[118:119], s[30:31]
	v_fma_f64 v[52:53], s[52:53], v[108:109], v[50:51]
	v_add_f64 v[100:101], v[76:77], v[100:101]
	v_fma_f64 v[14:15], v[108:109], s[20:21], -v[14:15]
	v_add_f64 v[34:35], v[32:33], v[64:65]
	v_mul_f64 v[32:33], v[114:115], s[24:25]
	v_fma_f64 v[40:41], s[34:35], v[108:109], v[38:39]
	v_add_f64 v[76:77], v[52:53], v[88:89]
	v_mul_f64 v[52:53], v[114:115], s[52:53]
	v_fma_f64 v[50:51], v[108:109], s[52:53], -v[50:51]
	v_add_f64 v[20:21], v[20:21], v[54:55]
	v_add_f64 v[14:15], v[14:15], v[36:37]
	v_fma_f64 v[36:37], s[22:23], v[116:117], v[32:33]
	v_add_f64 v[42:43], v[40:41], v[72:73]
	v_fma_f64 v[54:55], s[56:57], v[116:117], v[52:53]
	v_add_f64 v[72:73], v[50:51], v[102:103]
	v_fmac_f64_e32 v[52:53], s[50:51], v[116:117]
	v_mul_f64 v[50:51], v[118:119], s[0:1]
	v_add_f64 v[36:37], v[36:37], v[70:71]
	v_add_f64 v[70:71], v[52:53], v[90:91]
	v_fma_f64 v[52:53], s[28:29], v[108:109], v[50:51]
	v_add_f64 v[26:27], v[24:25], v[56:57]
	v_mul_f64 v[24:25], v[114:115], s[4:5]
	v_mul_f64 v[40:41], v[114:115], s[34:35]
	v_add_f64 v[64:65], v[52:53], v[48:49]
	v_mul_f64 v[48:49], v[114:115], s[28:29]
	v_fma_f64 v[50:51], v[108:109], s[28:29], -v[50:51]
	v_fma_f64 v[28:29], s[40:41], v[116:117], v[24:25]
	v_fmac_f64_e32 v[24:25], s[2:3], v[116:117]
	v_fma_f64 v[44:45], s[36:37], v[116:117], v[40:41]
	v_fmac_f64_e32 v[40:41], s[30:31], v[116:117]
	v_fma_f64 v[52:53], s[26:27], v[116:117], v[48:49]
	v_add_f64 v[56:57], v[50:51], v[46:47]
	v_fmac_f64_e32 v[48:49], s[0:1], v[116:117]
	v_mul_f64 v[46:47], v[118:119], s[6:7]
	v_add_f64 v[24:25], v[24:25], v[58:59]
	v_fma_f64 v[38:39], v[108:109], s[34:35], -v[38:39]
	v_add_f64 v[40:41], v[40:41], v[74:75]
	v_add_f64 v[74:75], v[54:55], v[94:95]
	;; [unrolled: 1-line block ×3, first 2 shown]
	v_fma_f64 v[48:49], s[14:15], v[108:109], v[46:47]
	v_mul_f64 v[58:59], v[114:115], s[14:15]
	v_add_f64 v[28:29], v[28:29], v[62:63]
	v_fma_f64 v[30:31], v[108:109], s[24:25], -v[30:31]
	v_add_f64 v[38:39], v[38:39], v[68:69]
	v_add_f64 v[62:63], v[52:53], v[98:99]
	;; [unrolled: 1-line block ×3, first 2 shown]
	v_fma_f64 v[48:49], s[44:45], v[116:117], v[58:59]
	v_fma_f64 v[46:47], v[108:109], s[14:15], -v[46:47]
	v_fmac_f64_e32 v[58:59], s[6:7], v[116:117]
	v_add_f64 v[68:69], v[8:9], -v[12:13]
	v_add_f64 v[30:31], v[30:31], v[60:61]
	v_fmac_f64_e32 v[32:33], s[46:47], v[116:117]
	v_add_f64 v[50:51], v[48:49], v[100:101]
	v_add_f64 v[48:49], v[46:47], v[104:105]
	;; [unrolled: 1-line block ×4, first 2 shown]
	v_add_f64 v[58:59], v[6:7], -v[10:11]
	v_mul_f64 v[6:7], v[68:69], s[50:51]
	v_add_f64 v[32:33], v[32:33], v[66:67]
	v_add_f64 v[66:67], v[8:9], v[12:13]
	v_fma_f64 v[8:9], s[52:53], v[60:61], v[6:7]
	v_add_f64 v[10:11], v[8:9], v[84:85]
	v_mul_f64 v[8:9], v[66:67], s[52:53]
	v_fma_f64 v[12:13], s[56:57], v[58:59], v[8:9]
	v_fmac_f64_e32 v[8:9], s[50:51], v[58:59]
	v_fma_f64 v[6:7], v[60:61], s[52:53], -v[6:7]
	v_add_f64 v[8:9], v[8:9], v[78:79]
	v_mul_f64 v[78:79], v[68:69], s[36:37]
	v_add_f64 v[6:7], v[6:7], v[80:81]
	v_fma_f64 v[80:81], s[34:35], v[60:61], v[78:79]
	v_add_f64 v[18:19], v[80:81], v[18:19]
	v_mul_f64 v[80:81], v[66:67], s[34:35]
	v_fma_f64 v[78:79], v[60:61], s[34:35], -v[78:79]
	v_add_f64 v[12:13], v[12:13], v[82:83]
	v_fma_f64 v[82:83], s[30:31], v[58:59], v[80:81]
	v_add_f64 v[14:15], v[78:79], v[14:15]
	v_fmac_f64_e32 v[80:81], s[36:37], v[58:59]
	v_mul_f64 v[78:79], v[68:69], s[38:39]
	v_add_f64 v[16:17], v[80:81], v[16:17]
	v_fma_f64 v[80:81], s[48:49], v[60:61], v[78:79]
	v_add_f64 v[26:27], v[80:81], v[26:27]
	v_mul_f64 v[80:81], v[66:67], s[48:49]
	v_fma_f64 v[78:79], v[60:61], s[48:49], -v[78:79]
	v_add_f64 v[20:21], v[82:83], v[20:21]
	v_fma_f64 v[82:83], s[54:55], v[58:59], v[80:81]
	v_add_f64 v[22:23], v[78:79], v[22:23]
	v_fmac_f64_e32 v[80:81], s[38:39], v[58:59]
	;; [unrolled: 10-line block ×3, first 2 shown]
	v_mul_f64 v[78:79], v[68:69], s[22:23]
	v_add_f64 v[32:33], v[80:81], v[32:33]
	v_fma_f64 v[80:81], s[24:25], v[60:61], v[78:79]
	v_add_f64 v[42:43], v[80:81], v[42:43]
	v_mul_f64 v[80:81], v[66:67], s[24:25]
	v_add_f64 v[36:37], v[82:83], v[36:37]
	v_fma_f64 v[82:83], s[46:47], v[58:59], v[80:81]
	v_fmac_f64_e32 v[80:81], s[22:23], v[58:59]
	v_add_f64 v[44:45], v[44:45], v[86:87]
	v_fma_f64 v[78:79], v[60:61], s[24:25], -v[78:79]
	v_add_f64 v[40:41], v[80:81], v[40:41]
	v_mul_f64 v[80:81], v[68:69], s[42:43]
	v_add_f64 v[44:45], v[82:83], v[44:45]
	v_add_f64 v[38:39], v[78:79], v[38:39]
	v_fma_f64 v[78:79], s[20:21], v[60:61], v[80:81]
	v_mul_f64 v[82:83], v[66:67], s[20:21]
	v_add_f64 v[76:77], v[78:79], v[76:77]
	v_fma_f64 v[78:79], s[18:19], v[58:59], v[82:83]
	v_add_f64 v[78:79], v[78:79], v[74:75]
	v_fma_f64 v[74:75], v[60:61], s[20:21], -v[80:81]
	v_fmac_f64_e32 v[82:83], s[42:43], v[58:59]
	v_add_f64 v[72:73], v[74:75], v[72:73]
	v_add_f64 v[74:75], v[82:83], v[70:71]
	v_mul_f64 v[70:71], v[68:69], s[6:7]
	v_fma_f64 v[80:81], s[14:15], v[60:61], v[70:71]
	v_add_f64 v[80:81], v[80:81], v[64:65]
	v_mul_f64 v[64:65], v[66:67], s[14:15]
	v_fma_f64 v[82:83], s[44:45], v[58:59], v[64:65]
	v_add_f64 v[82:83], v[82:83], v[62:63]
	v_fma_f64 v[62:63], v[60:61], s[14:15], -v[70:71]
	v_add_f64 v[62:63], v[62:63], v[56:57]
	v_fmac_f64_e32 v[64:65], s[6:7], v[58:59]
	v_mul_f64 v[56:57], v[68:69], s[40:41]
	v_add_f64 v[64:65], v[64:65], v[54:55]
	v_fma_f64 v[54:55], s[4:5], v[60:61], v[56:57]
	v_mul_f64 v[66:67], v[66:67], s[4:5]
	v_add_f64 v[52:53], v[54:55], v[52:53]
	v_fma_f64 v[54:55], s[2:3], v[58:59], v[66:67]
	v_add_f64 v[54:55], v[54:55], v[50:51]
	v_fma_f64 v[50:51], v[60:61], s[4:5], -v[56:57]
	v_fmac_f64_e32 v[66:67], s[40:41], v[58:59]
	v_add_f64 v[48:49], v[50:51], v[48:49]
	v_add_f64 v[50:51], v[66:67], v[46:47]
	v_mul_u32_u24_e32 v46, 0x770, v112
	v_lshlrev_b32_e32 v66, 4, v113
	v_add3_u32 v46, 0, v46, v66
	ds_write_b128 v46, v[2:5]
	ds_write_b128 v46, v[10:13] offset:112
	ds_write_b128 v46, v[18:21] offset:224
	;; [unrolled: 1-line block ×16, first 2 shown]
	v_mul_lo_u16_e32 v2, 31, v112
	v_lshrrev_b16_e32 v2, 9, v2
	v_mul_lo_u16_e32 v2, 17, v2
	v_sub_u16_e32 v2, v112, v2
	v_and_b32_e32 v111, 0xff, v2
	v_lshlrev_b32_e32 v50, 8, v111
	s_waitcnt lgkmcnt(0)
	s_barrier
	global_load_dwordx4 v[14:17], v50, s[58:59]
	global_load_dwordx4 v[10:13], v50, s[58:59] offset:16
	global_load_dwordx4 v[6:9], v50, s[58:59] offset:32
	;; [unrolled: 1-line block ×14, first 2 shown]
	s_nop 0
	global_load_dwordx4 v[50:53], v50, s[58:59] offset:240
	v_mul_u32_u24_e32 v67, 0x70, v112
	v_add3_u32 v132, 0, v67, v66
	ds_read_b128 v[90:93], v132 offset:1904
	ds_read_b128 v[94:97], v132 offset:3808
	;; [unrolled: 1-line block ×9, first 2 shown]
	ds_read_b128 v[102:105], v132
	ds_read_b128 v[106:109], v132 offset:19040
	ds_read_b128 v[112:115], v132 offset:20944
	v_mov_b32_e32 v153, 4
	v_mov_b32_e32 v152, 0x2000
	;; [unrolled: 1-line block ×3, first 2 shown]
	v_mul_u32_u24_e32 v0, 0x227, v0
	s_waitcnt vmcnt(15) lgkmcnt(11)
	v_mul_f64 v[124:125], v[92:93], v[16:17]
	v_mul_f64 v[16:17], v[90:91], v[16:17]
	v_fmac_f64_e32 v[124:125], v[90:91], v[14:15]
	v_fma_f64 v[126:127], v[92:93], v[14:15], -v[16:17]
	s_waitcnt vmcnt(14) lgkmcnt(10)
	v_mul_f64 v[128:129], v[96:97], v[12:13]
	v_mul_f64 v[12:13], v[94:95], v[12:13]
	s_waitcnt vmcnt(13) lgkmcnt(9)
	v_mul_f64 v[92:93], v[100:101], v[8:9]
	s_waitcnt vmcnt(12) lgkmcnt(8)
	v_mul_f64 v[90:91], v[88:89], v[4:5]
	v_mul_f64 v[4:5], v[86:87], v[4:5]
	v_fma_f64 v[130:131], v[96:97], v[10:11], -v[12:13]
	v_fmac_f64_e32 v[92:93], v[98:99], v[6:7]
	v_mul_f64 v[8:9], v[98:99], v[8:9]
	ds_read_b128 v[96:99], v132 offset:22848
	ds_read_b128 v[116:119], v132 offset:24752
	v_fmac_f64_e32 v[90:91], v[86:87], v[2:3]
	v_fma_f64 v[88:89], v[88:89], v[2:3], -v[4:5]
	s_waitcnt vmcnt(11) lgkmcnt(9)
	v_mul_f64 v[86:87], v[84:85], v[32:33]
	v_mul_f64 v[2:3], v[82:83], v[32:33]
	v_fmac_f64_e32 v[86:87], v[82:83], v[30:31]
	v_fma_f64 v[32:33], v[84:85], v[30:31], -v[2:3]
	s_waitcnt vmcnt(10) lgkmcnt(8)
	v_mul_f64 v[30:31], v[80:81], v[28:29]
	v_mul_f64 v[2:3], v[78:79], v[28:29]
	ds_read_b128 v[82:85], v132 offset:26656
	ds_read_b128 v[120:123], v132 offset:28560
	v_fmac_f64_e32 v[30:31], v[78:79], v[26:27]
	v_fma_f64 v[26:27], v[80:81], v[26:27], -v[2:3]
	ds_read_b128 v[78:81], v132 offset:30464
	v_fmac_f64_e32 v[128:129], v[94:95], v[10:11]
	s_waitcnt vmcnt(9) lgkmcnt(10)
	v_mul_f64 v[10:11], v[76:77], v[24:25]
	v_mul_f64 v[2:3], v[74:75], v[24:25]
	s_waitcnt vmcnt(3) lgkmcnt(3)
	v_mul_f64 v[28:29], v[116:117], v[64:65]
	v_fmac_f64_e32 v[10:11], v[74:75], v[22:23]
	v_fma_f64 v[12:13], v[76:77], v[22:23], -v[2:3]
	v_mul_f64 v[2:3], v[72:73], v[20:21]
	v_mul_f64 v[4:5], v[70:71], v[20:21]
	v_mul_f64 v[14:15], v[108:109], v[44:45]
	v_mul_f64 v[16:17], v[106:107], v[44:45]
	v_mul_f64 v[22:23], v[98:99], v[36:37]
	v_mul_f64 v[24:25], v[96:97], v[36:37]
	v_fma_f64 v[36:37], v[118:119], v[62:63], -v[28:29]
	s_waitcnt vmcnt(2) lgkmcnt(2)
	v_mul_f64 v[28:29], v[82:83], v[60:61]
	v_fma_f64 v[94:95], v[100:101], v[6:7], -v[8:9]
	v_fmac_f64_e32 v[2:3], v[70:71], v[18:19]
	v_fma_f64 v[4:5], v[72:73], v[18:19], -v[4:5]
	v_mul_f64 v[6:7], v[68:69], v[48:49]
	v_mul_f64 v[8:9], v[66:67], v[48:49]
	v_fmac_f64_e32 v[14:15], v[106:107], v[42:43]
	v_fma_f64 v[16:17], v[108:109], v[42:43], -v[16:17]
	v_mul_f64 v[18:19], v[114:115], v[40:41]
	v_mul_f64 v[20:21], v[112:113], v[40:41]
	v_fma_f64 v[40:41], v[84:85], v[58:59], -v[28:29]
	s_waitcnt vmcnt(1) lgkmcnt(1)
	v_mul_f64 v[28:29], v[120:121], v[56:57]
	s_waitcnt vmcnt(0) lgkmcnt(0)
	v_mul_f64 v[42:43], v[78:79], v[52:53]
	v_fmac_f64_e32 v[6:7], v[66:67], v[46:47]
	v_fma_f64 v[8:9], v[68:69], v[46:47], -v[8:9]
	v_mul_f64 v[44:45], v[122:123], v[56:57]
	v_fma_f64 v[46:47], v[122:123], v[54:55], -v[28:29]
	v_mul_f64 v[28:29], v[80:81], v[52:53]
	v_fma_f64 v[48:49], v[80:81], v[50:51], -v[42:43]
	v_fmac_f64_e32 v[44:45], v[120:121], v[54:55]
	v_fmac_f64_e32 v[28:29], v[78:79], v[50:51]
	v_add_f64 v[54:55], v[126:127], -v[48:49]
	v_fmac_f64_e32 v[18:19], v[112:113], v[38:39]
	v_fma_f64 v[20:21], v[114:115], v[38:39], -v[20:21]
	v_fmac_f64_e32 v[22:23], v[96:97], v[34:35]
	v_fma_f64 v[24:25], v[98:99], v[34:35], -v[24:25]
	v_mul_f64 v[34:35], v[118:119], v[64:65]
	v_mul_f64 v[38:39], v[84:85], v[60:61]
	v_add_f64 v[42:43], v[124:125], v[28:29]
	v_add_f64 v[50:51], v[126:127], v[48:49]
	v_mul_f64 v[56:57], v[54:55], s[30:31]
	v_mul_f64 v[64:65], v[54:55], s[26:27]
	;; [unrolled: 1-line block ×8, first 2 shown]
	v_fmac_f64_e32 v[34:35], v[116:117], v[62:63]
	v_fmac_f64_e32 v[38:39], v[82:83], v[58:59]
	v_add_f64 v[52:53], v[124:125], -v[28:29]
	v_fma_f64 v[58:59], s[34:35], v[42:43], v[56:57]
	v_mul_f64 v[60:61], v[50:51], s[34:35]
	v_fma_f64 v[56:57], v[42:43], s[34:35], -v[56:57]
	v_fma_f64 v[66:67], s[28:29], v[42:43], v[64:65]
	v_mul_f64 v[68:69], v[50:51], s[28:29]
	v_fma_f64 v[64:65], v[42:43], s[28:29], -v[64:65]
	v_fma_f64 v[74:75], s[20:21], v[42:43], v[72:73]
	v_fma_f64 v[72:73], v[42:43], s[20:21], -v[72:73]
	v_fma_f64 v[78:79], s[4:5], v[42:43], v[76:77]
	;; [unrolled: 2-line block ×6, first 2 shown]
	v_fma_f64 v[42:43], v[42:43], s[52:53], -v[54:55]
	v_mul_f64 v[54:55], v[50:51], s[20:21]
	v_mul_f64 v[112:113], v[50:51], s[4:5]
	;; [unrolled: 1-line block ×6, first 2 shown]
	v_fma_f64 v[62:63], s[36:37], v[52:53], v[60:61]
	v_fmac_f64_e32 v[60:61], s[30:31], v[52:53]
	v_fma_f64 v[70:71], s[0:1], v[52:53], v[68:69]
	v_fmac_f64_e32 v[68:69], s[26:27], v[52:53]
	;; [unrolled: 2-line block ×8, first 2 shown]
	v_add_f64 v[52:53], v[102:103], v[124:125]
	v_add_f64 v[58:59], v[102:103], v[58:59]
	;; [unrolled: 1-line block ×48, first 2 shown]
	v_add_f64 v[46:47], v[130:131], -v[46:47]
	v_add_f64 v[62:63], v[104:105], v[62:63]
	v_add_f64 v[60:61], v[104:105], v[60:61]
	;; [unrolled: 1-line block ×18, first 2 shown]
	v_mul_f64 v[104:105], v[46:47], s[26:27]
	v_fma_f64 v[124:125], s[28:29], v[48:49], v[104:105]
	v_add_f64 v[44:45], v[128:129], -v[44:45]
	v_add_f64 v[58:59], v[124:125], v[58:59]
	v_mul_f64 v[124:125], v[52:53], s[28:29]
	v_fma_f64 v[104:105], v[48:49], s[28:29], -v[104:105]
	v_fma_f64 v[128:129], s[0:1], v[44:45], v[124:125]
	v_add_f64 v[56:57], v[104:105], v[56:57]
	v_fmac_f64_e32 v[124:125], s[26:27], v[44:45]
	v_mul_f64 v[104:105], v[46:47], s[2:3]
	v_add_f64 v[60:61], v[124:125], v[60:61]
	v_fma_f64 v[124:125], s[4:5], v[48:49], v[104:105]
	v_add_f64 v[66:67], v[124:125], v[66:67]
	v_mul_f64 v[124:125], v[52:53], s[4:5]
	v_fma_f64 v[104:105], v[48:49], s[4:5], -v[104:105]
	v_add_f64 v[62:63], v[128:129], v[62:63]
	v_fma_f64 v[128:129], s[40:41], v[44:45], v[124:125]
	v_add_f64 v[64:65], v[104:105], v[64:65]
	v_fmac_f64_e32 v[124:125], s[2:3], v[44:45]
	v_mul_f64 v[104:105], v[46:47], s[22:23]
	v_add_f64 v[68:69], v[124:125], v[68:69]
	v_fma_f64 v[124:125], s[24:25], v[48:49], v[104:105]
	v_add_f64 v[74:75], v[124:125], v[74:75]
	v_mul_f64 v[124:125], v[52:53], s[24:25]
	v_fma_f64 v[104:105], v[48:49], s[24:25], -v[104:105]
	v_add_f64 v[70:71], v[128:129], v[70:71]
	v_fma_f64 v[128:129], s[46:47], v[44:45], v[124:125]
	v_add_f64 v[72:73], v[104:105], v[72:73]
	v_fmac_f64_e32 v[124:125], s[22:23], v[44:45]
	v_mul_f64 v[104:105], v[46:47], s[50:51]
	v_add_f64 v[54:55], v[124:125], v[54:55]
	v_fma_f64 v[124:125], s[52:53], v[48:49], v[104:105]
	v_add_f64 v[78:79], v[124:125], v[78:79]
	v_mul_f64 v[124:125], v[52:53], s[52:53]
	v_add_f64 v[108:109], v[128:129], v[108:109]
	v_fma_f64 v[128:129], s[56:57], v[44:45], v[124:125]
	v_fma_f64 v[104:105], v[48:49], s[52:53], -v[104:105]
	v_fmac_f64_e32 v[124:125], s[50:51], v[44:45]
	v_add_f64 v[76:77], v[104:105], v[76:77]
	v_add_f64 v[104:105], v[124:125], v[112:113]
	v_mul_f64 v[112:113], v[46:47], s[54:55]
	v_fma_f64 v[124:125], s[48:49], v[48:49], v[112:113]
	v_add_f64 v[82:83], v[124:125], v[82:83]
	v_mul_f64 v[124:125], v[52:53], s[48:49]
	v_add_f64 v[114:115], v[128:129], v[114:115]
	v_fma_f64 v[128:129], s[38:39], v[44:45], v[124:125]
	v_fma_f64 v[112:113], v[48:49], s[48:49], -v[112:113]
	v_fmac_f64_e32 v[124:125], s[54:55], v[44:45]
	v_add_f64 v[80:81], v[112:113], v[80:81]
	v_add_f64 v[112:113], v[124:125], v[116:117]
	v_mul_f64 v[116:117], v[46:47], s[44:45]
	;; [unrolled: 10-line block ×3, first 2 shown]
	v_fma_f64 v[124:125], s[20:21], v[48:49], v[120:121]
	v_add_f64 v[100:101], v[124:125], v[100:101]
	v_mul_f64 v[124:125], v[52:53], s[20:21]
	v_add_f64 v[122:123], v[128:129], v[122:123]
	v_fma_f64 v[128:129], s[18:19], v[44:45], v[124:125]
	v_fma_f64 v[120:121], v[48:49], s[20:21], -v[120:121]
	v_fmac_f64_e32 v[124:125], s[42:43], v[44:45]
	v_mul_f64 v[46:47], v[46:47], s[36:37]
	v_add_f64 v[98:99], v[120:121], v[98:99]
	v_add_f64 v[120:121], v[124:125], v[132:133]
	v_fma_f64 v[124:125], s[34:35], v[48:49], v[46:47]
	v_mul_f64 v[52:53], v[52:53], s[34:35]
	v_add_f64 v[106:107], v[124:125], v[106:107]
	v_fma_f64 v[124:125], s[30:31], v[44:45], v[52:53]
	v_fmac_f64_e32 v[52:53], s[36:37], v[44:45]
	v_add_f64 v[44:45], v[52:53], v[50:51]
	v_add_f64 v[50:51], v[94:95], v[40:41]
	v_add_f64 v[40:41], v[94:95], -v[40:41]
	v_fma_f64 v[46:47], v[48:49], s[34:35], -v[46:47]
	v_add_f64 v[48:49], v[92:93], v[38:39]
	v_mul_f64 v[52:53], v[40:41], s[18:19]
	v_add_f64 v[38:39], v[92:93], -v[38:39]
	v_fma_f64 v[92:93], s[20:21], v[48:49], v[52:53]
	v_add_f64 v[58:59], v[92:93], v[58:59]
	v_mul_f64 v[92:93], v[50:51], s[20:21]
	v_fma_f64 v[94:95], s[42:43], v[38:39], v[92:93]
	v_fma_f64 v[52:53], v[48:49], s[20:21], -v[52:53]
	v_fmac_f64_e32 v[92:93], s[18:19], v[38:39]
	v_add_f64 v[52:53], v[52:53], v[56:57]
	v_add_f64 v[56:57], v[92:93], v[60:61]
	v_mul_f64 v[60:61], v[40:41], s[22:23]
	v_fma_f64 v[92:93], s[24:25], v[48:49], v[60:61]
	v_add_f64 v[66:67], v[92:93], v[66:67]
	v_mul_f64 v[92:93], v[50:51], s[24:25]
	v_add_f64 v[62:63], v[94:95], v[62:63]
	v_fma_f64 v[94:95], s[46:47], v[38:39], v[92:93]
	v_fma_f64 v[60:61], v[48:49], s[24:25], -v[60:61]
	v_fmac_f64_e32 v[92:93], s[22:23], v[38:39]
	v_add_f64 v[60:61], v[60:61], v[64:65]
	v_add_f64 v[64:65], v[92:93], v[68:69]
	v_mul_f64 v[68:69], v[40:41], s[56:57]
	v_fma_f64 v[92:93], s[52:53], v[48:49], v[68:69]
	v_add_f64 v[74:75], v[92:93], v[74:75]
	v_mul_f64 v[92:93], v[50:51], s[52:53]
	v_fma_f64 v[68:69], v[48:49], s[52:53], -v[68:69]
	v_add_f64 v[70:71], v[94:95], v[70:71]
	v_fma_f64 v[94:95], s[50:51], v[38:39], v[92:93]
	v_add_f64 v[68:69], v[68:69], v[72:73]
	v_fmac_f64_e32 v[92:93], s[56:57], v[38:39]
	v_mul_f64 v[72:73], v[40:41], s[44:45]
	v_add_f64 v[54:55], v[92:93], v[54:55]
	v_fma_f64 v[92:93], s[14:15], v[48:49], v[72:73]
	v_add_f64 v[78:79], v[92:93], v[78:79]
	v_mul_f64 v[92:93], v[50:51], s[14:15]
	v_add_f64 v[46:47], v[46:47], v[102:103]
	v_fma_f64 v[102:103], s[6:7], v[38:39], v[92:93]
	v_fma_f64 v[72:73], v[48:49], s[14:15], -v[72:73]
	v_fmac_f64_e32 v[92:93], s[44:45], v[38:39]
	v_add_f64 v[72:73], v[72:73], v[76:77]
	v_add_f64 v[76:77], v[92:93], v[104:105]
	v_mul_f64 v[92:93], v[40:41], s[0:1]
	v_fma_f64 v[104:105], s[28:29], v[48:49], v[92:93]
	v_add_f64 v[82:83], v[104:105], v[82:83]
	v_mul_f64 v[104:105], v[50:51], s[28:29]
	v_add_f64 v[94:95], v[94:95], v[108:109]
	v_fma_f64 v[108:109], s[26:27], v[38:39], v[104:105]
	v_fma_f64 v[92:93], v[48:49], s[28:29], -v[92:93]
	v_fmac_f64_e32 v[104:105], s[0:1], v[38:39]
	v_add_f64 v[80:81], v[92:93], v[80:81]
	v_add_f64 v[92:93], v[104:105], v[112:113]
	v_mul_f64 v[104:105], v[40:41], s[30:31]
	;; [unrolled: 10-line block ×3, first 2 shown]
	v_fma_f64 v[116:117], s[4:5], v[48:49], v[112:113]
	v_add_f64 v[100:101], v[116:117], v[100:101]
	v_mul_f64 v[116:117], v[50:51], s[4:5]
	v_add_f64 v[108:109], v[108:109], v[118:119]
	v_fma_f64 v[118:119], s[40:41], v[38:39], v[116:117]
	v_fma_f64 v[112:113], v[48:49], s[4:5], -v[112:113]
	v_fmac_f64_e32 v[116:117], s[2:3], v[38:39]
	v_mul_f64 v[40:41], v[40:41], s[38:39]
	v_add_f64 v[98:99], v[112:113], v[98:99]
	v_add_f64 v[112:113], v[116:117], v[120:121]
	v_fma_f64 v[116:117], s[48:49], v[48:49], v[40:41]
	v_mul_f64 v[50:51], v[50:51], s[48:49]
	v_fma_f64 v[40:41], v[48:49], s[48:49], -v[40:41]
	v_add_f64 v[106:107], v[116:117], v[106:107]
	v_fma_f64 v[116:117], s[54:55], v[38:39], v[50:51]
	v_add_f64 v[40:41], v[40:41], v[46:47]
	v_fmac_f64_e32 v[50:51], s[38:39], v[38:39]
	v_add_f64 v[46:47], v[88:89], v[36:37]
	v_add_f64 v[36:37], v[88:89], -v[36:37]
	v_add_f64 v[38:39], v[50:51], v[44:45]
	v_add_f64 v[44:45], v[90:91], v[34:35]
	v_mul_f64 v[48:49], v[36:37], s[2:3]
	v_fma_f64 v[50:51], s[4:5], v[44:45], v[48:49]
	v_add_f64 v[34:35], v[90:91], -v[34:35]
	v_add_f64 v[50:51], v[50:51], v[58:59]
	v_mul_f64 v[58:59], v[46:47], s[4:5]
	v_fma_f64 v[88:89], s[40:41], v[34:35], v[58:59]
	v_fma_f64 v[48:49], v[44:45], s[4:5], -v[48:49]
	v_fmac_f64_e32 v[58:59], s[2:3], v[34:35]
	v_add_f64 v[48:49], v[48:49], v[52:53]
	v_add_f64 v[52:53], v[58:59], v[56:57]
	v_mul_f64 v[56:57], v[36:37], s[50:51]
	v_fma_f64 v[58:59], s[52:53], v[44:45], v[56:57]
	v_add_f64 v[58:59], v[58:59], v[66:67]
	v_mul_f64 v[66:67], v[46:47], s[52:53]
	v_add_f64 v[62:63], v[88:89], v[62:63]
	v_fma_f64 v[88:89], s[56:57], v[34:35], v[66:67]
	v_fma_f64 v[56:57], v[44:45], s[52:53], -v[56:57]
	v_fmac_f64_e32 v[66:67], s[50:51], v[34:35]
	v_add_f64 v[56:57], v[56:57], v[60:61]
	v_add_f64 v[60:61], v[66:67], v[64:65]
	v_mul_f64 v[64:65], v[36:37], s[44:45]
	v_fma_f64 v[66:67], s[14:15], v[44:45], v[64:65]
	v_add_f64 v[66:67], v[66:67], v[74:75]
	v_mul_f64 v[74:75], v[46:47], s[14:15]
	v_fma_f64 v[64:65], v[44:45], s[14:15], -v[64:65]
	v_add_f64 v[70:71], v[88:89], v[70:71]
	v_fma_f64 v[88:89], s[6:7], v[34:35], v[74:75]
	v_add_f64 v[64:65], v[64:65], v[68:69]
	v_fmac_f64_e32 v[74:75], s[44:45], v[34:35]
	v_mul_f64 v[68:69], v[36:37], s[36:37]
	v_add_f64 v[54:55], v[74:75], v[54:55]
	v_fma_f64 v[74:75], s[34:35], v[44:45], v[68:69]
	v_add_f64 v[74:75], v[74:75], v[78:79]
	v_mul_f64 v[78:79], v[46:47], s[34:35]
	v_fma_f64 v[90:91], s[30:31], v[34:35], v[78:79]
	v_fma_f64 v[68:69], v[44:45], s[34:35], -v[68:69]
	v_fmac_f64_e32 v[78:79], s[36:37], v[34:35]
	v_add_f64 v[68:69], v[68:69], v[72:73]
	v_add_f64 v[72:73], v[78:79], v[76:77]
	v_mul_f64 v[76:77], v[36:37], s[18:19]
	v_fma_f64 v[78:79], s[20:21], v[44:45], v[76:77]
	v_add_f64 v[78:79], v[78:79], v[82:83]
	v_mul_f64 v[82:83], v[46:47], s[20:21]
	v_add_f64 v[88:89], v[88:89], v[94:95]
	v_fma_f64 v[94:95], s[42:43], v[34:35], v[82:83]
	v_fma_f64 v[76:77], v[44:45], s[20:21], -v[76:77]
	v_fmac_f64_e32 v[82:83], s[18:19], v[34:35]
	v_add_f64 v[76:77], v[76:77], v[80:81]
	v_add_f64 v[80:81], v[82:83], v[92:93]
	v_mul_f64 v[82:83], v[36:37], s[38:39]
	v_fma_f64 v[92:93], s[48:49], v[44:45], v[82:83]
	v_add_f64 v[92:93], v[92:93], v[96:97]
	v_mul_f64 v[96:97], v[46:47], s[48:49]
	v_add_f64 v[90:91], v[90:91], v[102:103]
	;; [unrolled: 10-line block ×3, first 2 shown]
	v_fma_f64 v[108:109], s[22:23], v[34:35], v[104:105]
	v_fma_f64 v[96:97], v[44:45], s[24:25], -v[96:97]
	v_fmac_f64_e32 v[104:105], s[46:47], v[34:35]
	v_mul_f64 v[36:37], v[36:37], s[0:1]
	v_add_f64 v[96:97], v[96:97], v[98:99]
	v_add_f64 v[98:99], v[104:105], v[112:113]
	v_fma_f64 v[104:105], s[28:29], v[44:45], v[36:37]
	v_mul_f64 v[46:47], v[46:47], s[28:29]
	v_fma_f64 v[36:37], v[44:45], s[28:29], -v[36:37]
	v_add_f64 v[104:105], v[104:105], v[106:107]
	v_fma_f64 v[106:107], s[26:27], v[34:35], v[46:47]
	v_add_f64 v[36:37], v[36:37], v[40:41]
	v_fmac_f64_e32 v[46:47], s[0:1], v[34:35]
	v_add_f64 v[40:41], v[32:33], v[24:25]
	v_add_f64 v[24:25], v[32:33], -v[24:25]
	v_add_f64 v[34:35], v[46:47], v[38:39]
	v_add_f64 v[38:39], v[86:87], v[22:23]
	v_mul_f64 v[32:33], v[24:25], s[6:7]
	v_add_f64 v[22:23], v[86:87], -v[22:23]
	v_fma_f64 v[44:45], s[14:15], v[38:39], v[32:33]
	v_mul_f64 v[46:47], v[40:41], s[14:15]
	v_fma_f64 v[32:33], v[38:39], s[14:15], -v[32:33]
	v_add_f64 v[44:45], v[44:45], v[50:51]
	v_fma_f64 v[50:51], s[44:45], v[22:23], v[46:47]
	v_add_f64 v[32:33], v[32:33], v[48:49]
	v_fmac_f64_e32 v[46:47], s[6:7], v[22:23]
	v_mul_f64 v[48:49], v[24:25], s[54:55]
	v_add_f64 v[46:47], v[46:47], v[52:53]
	v_fma_f64 v[52:53], s[48:49], v[38:39], v[48:49]
	v_add_f64 v[52:53], v[52:53], v[58:59]
	v_mul_f64 v[58:59], v[40:41], s[48:49]
	v_add_f64 v[50:51], v[50:51], v[62:63]
	v_fma_f64 v[62:63], s[38:39], v[22:23], v[58:59]
	v_fma_f64 v[48:49], v[38:39], s[48:49], -v[48:49]
	v_fmac_f64_e32 v[58:59], s[54:55], v[22:23]
	v_add_f64 v[48:49], v[48:49], v[56:57]
	v_add_f64 v[56:57], v[58:59], v[60:61]
	v_mul_f64 v[58:59], v[24:25], s[0:1]
	v_fma_f64 v[60:61], s[28:29], v[38:39], v[58:59]
	v_add_f64 v[60:61], v[60:61], v[66:67]
	v_mul_f64 v[66:67], v[40:41], s[28:29]
	v_fma_f64 v[58:59], v[38:39], s[28:29], -v[58:59]
	v_add_f64 v[62:63], v[62:63], v[70:71]
	v_fma_f64 v[70:71], s[26:27], v[22:23], v[66:67]
	v_add_f64 v[58:59], v[58:59], v[64:65]
	v_fmac_f64_e32 v[66:67], s[0:1], v[22:23]
	v_mul_f64 v[64:65], v[24:25], s[18:19]
	v_add_f64 v[54:55], v[66:67], v[54:55]
	v_fma_f64 v[66:67], s[20:21], v[38:39], v[64:65]
	v_add_f64 v[66:67], v[66:67], v[74:75]
	v_mul_f64 v[74:75], v[40:41], s[20:21]
	v_fma_f64 v[86:87], s[42:43], v[22:23], v[74:75]
	v_fma_f64 v[64:65], v[38:39], s[20:21], -v[64:65]
	v_fmac_f64_e32 v[74:75], s[18:19], v[22:23]
	v_add_f64 v[64:65], v[64:65], v[68:69]
	v_add_f64 v[68:69], v[74:75], v[72:73]
	v_mul_f64 v[72:73], v[24:25], s[50:51]
	v_fma_f64 v[74:75], s[52:53], v[38:39], v[72:73]
	v_add_f64 v[74:75], v[74:75], v[78:79]
	v_mul_f64 v[78:79], v[40:41], s[52:53]
	v_add_f64 v[70:71], v[70:71], v[88:89]
	v_fma_f64 v[88:89], s[56:57], v[22:23], v[78:79]
	v_fma_f64 v[72:73], v[38:39], s[52:53], -v[72:73]
	v_fmac_f64_e32 v[78:79], s[50:51], v[22:23]
	v_add_f64 v[72:73], v[72:73], v[76:77]
	v_add_f64 v[76:77], v[78:79], v[80:81]
	v_mul_f64 v[78:79], v[24:25], s[40:41]
	v_add_f64 v[86:87], v[86:87], v[90:91]
	v_fma_f64 v[80:81], s[4:5], v[38:39], v[78:79]
	v_mul_f64 v[90:91], v[40:41], s[4:5]
	v_add_f64 v[80:81], v[80:81], v[92:93]
	v_fma_f64 v[92:93], s[2:3], v[22:23], v[90:91]
	v_fma_f64 v[78:79], v[38:39], s[4:5], -v[78:79]
	v_fmac_f64_e32 v[90:91], s[40:41], v[22:23]
	v_add_f64 v[78:79], v[78:79], v[82:83]
	v_add_f64 v[82:83], v[90:91], v[84:85]
	v_mul_f64 v[84:85], v[24:25], s[30:31]
	v_add_f64 v[88:89], v[88:89], v[94:95]
	v_fma_f64 v[90:91], s[34:35], v[38:39], v[84:85]
	v_mul_f64 v[94:95], v[40:41], s[34:35]
	v_fma_f64 v[84:85], v[38:39], s[34:35], -v[84:85]
	v_mul_f64 v[24:25], v[24:25], s[22:23]
	v_add_f64 v[90:91], v[90:91], v[100:101]
	v_fma_f64 v[100:101], s[36:37], v[22:23], v[94:95]
	v_add_f64 v[84:85], v[84:85], v[96:97]
	v_fmac_f64_e32 v[94:95], s[30:31], v[22:23]
	v_fma_f64 v[96:97], s[24:25], v[38:39], v[24:25]
	v_mul_f64 v[40:41], v[40:41], s[24:25]
	v_fma_f64 v[24:25], v[38:39], s[24:25], -v[24:25]
	v_add_f64 v[94:95], v[94:95], v[98:99]
	v_fma_f64 v[98:99], s[46:47], v[22:23], v[40:41]
	v_add_f64 v[24:25], v[24:25], v[36:37]
	v_fmac_f64_e32 v[40:41], s[22:23], v[22:23]
	v_add_f64 v[36:37], v[26:27], v[20:21]
	v_add_f64 v[20:21], v[26:27], -v[20:21]
	v_add_f64 v[22:23], v[40:41], v[34:35]
	v_add_f64 v[34:35], v[30:31], v[18:19]
	v_add_f64 v[18:19], v[30:31], -v[18:19]
	v_mul_f64 v[26:27], v[20:21], s[22:23]
	v_mul_f64 v[38:39], v[36:37], s[24:25]
	v_fma_f64 v[30:31], s[24:25], v[34:35], v[26:27]
	v_fma_f64 v[40:41], s[46:47], v[18:19], v[38:39]
	v_fma_f64 v[26:27], v[34:35], s[24:25], -v[26:27]
	v_fmac_f64_e32 v[38:39], s[22:23], v[18:19]
	v_add_f64 v[26:27], v[26:27], v[32:33]
	v_add_f64 v[32:33], v[38:39], v[46:47]
	v_mul_f64 v[38:39], v[20:21], s[44:45]
	v_add_f64 v[30:31], v[30:31], v[44:45]
	v_fma_f64 v[44:45], s[14:15], v[34:35], v[38:39]
	v_mul_f64 v[46:47], v[36:37], s[14:15]
	v_fma_f64 v[38:39], v[34:35], s[14:15], -v[38:39]
	v_add_f64 v[40:41], v[40:41], v[50:51]
	v_fma_f64 v[50:51], s[6:7], v[18:19], v[46:47]
	v_add_f64 v[38:39], v[38:39], v[48:49]
	v_fmac_f64_e32 v[46:47], s[44:45], v[18:19]
	v_mul_f64 v[48:49], v[20:21], s[30:31]
	v_add_f64 v[44:45], v[44:45], v[52:53]
	v_add_f64 v[46:47], v[46:47], v[56:57]
	v_fma_f64 v[52:53], s[34:35], v[34:35], v[48:49]
	v_mul_f64 v[56:57], v[36:37], s[34:35]
	v_add_f64 v[52:53], v[52:53], v[60:61]
	v_fma_f64 v[60:61], s[36:37], v[18:19], v[56:57]
	v_fmac_f64_e32 v[56:57], s[30:31], v[18:19]
	v_fma_f64 v[48:49], v[34:35], s[34:35], -v[48:49]
	v_add_f64 v[54:55], v[56:57], v[54:55]
	v_mul_f64 v[56:57], v[20:21], s[38:39]
	v_add_f64 v[50:51], v[50:51], v[62:63]
	v_add_f64 v[48:49], v[48:49], v[58:59]
	v_fma_f64 v[58:59], s[48:49], v[34:35], v[56:57]
	v_mul_f64 v[62:63], v[36:37], s[48:49]
	v_fma_f64 v[56:57], v[34:35], s[48:49], -v[56:57]
	v_add_f64 v[58:59], v[58:59], v[66:67]
	v_fma_f64 v[66:67], s[54:55], v[18:19], v[62:63]
	v_add_f64 v[56:57], v[56:57], v[64:65]
	v_mul_f64 v[64:65], v[20:21], s[40:41]
	v_add_f64 v[60:61], v[60:61], v[70:71]
	v_add_f64 v[70:71], v[66:67], v[86:87]
	v_fma_f64 v[66:67], s[4:5], v[34:35], v[64:65]
	v_add_f64 v[114:115], v[114:115], v[122:123]
	v_fmac_f64_e32 v[62:63], s[38:39], v[18:19]
	v_add_f64 v[86:87], v[66:67], v[74:75]
	v_mul_f64 v[66:67], v[36:37], s[4:5]
	v_add_f64 v[102:103], v[102:103], v[114:115]
	v_add_f64 v[62:63], v[62:63], v[68:69]
	v_fma_f64 v[68:69], s[2:3], v[18:19], v[66:67]
	v_fmac_f64_e32 v[66:67], s[40:41], v[18:19]
	v_add_f64 v[92:93], v[92:93], v[102:103]
	v_add_f64 v[102:103], v[66:67], v[76:77]
	v_mul_f64 v[66:67], v[20:21], s[26:27]
	v_add_f64 v[88:89], v[68:69], v[88:89]
	v_fma_f64 v[68:69], s[28:29], v[34:35], v[66:67]
	v_add_f64 v[126:127], v[128:129], v[126:127]
	v_fma_f64 v[64:65], v[34:35], s[4:5], -v[64:65]
	v_add_f64 v[80:81], v[68:69], v[80:81]
	v_mul_f64 v[68:69], v[36:37], s[28:29]
	v_fma_f64 v[66:67], v[34:35], s[28:29], -v[66:67]
	v_add_f64 v[122:123], v[12:13], -v[16:17]
	v_add_f64 v[118:119], v[118:119], v[126:127]
	v_add_f64 v[96:97], v[96:97], v[104:105]
	;; [unrolled: 1-line block ×3, first 2 shown]
	v_fma_f64 v[72:73], s[0:1], v[18:19], v[68:69]
	v_add_f64 v[104:105], v[66:67], v[78:79]
	v_fmac_f64_e32 v[68:69], s[26:27], v[18:19]
	v_mul_f64 v[66:67], v[20:21], s[50:51]
	v_add_f64 v[114:115], v[10:11], v[14:15]
	v_add_f64 v[120:121], v[10:11], -v[14:15]
	v_mul_f64 v[10:11], v[122:123], s[38:39]
	v_add_f64 v[124:125], v[124:125], v[134:135]
	v_add_f64 v[108:109], v[108:109], v[118:119]
	;; [unrolled: 1-line block ×3, first 2 shown]
	v_fma_f64 v[68:69], s[52:53], v[34:35], v[66:67]
	v_add_f64 v[118:119], v[12:13], v[16:17]
	v_fma_f64 v[12:13], s[48:49], v[114:115], v[10:11]
	v_add_f64 v[116:117], v[116:117], v[124:125]
	v_add_f64 v[90:91], v[68:69], v[90:91]
	v_mul_f64 v[68:69], v[36:37], s[52:53]
	v_add_f64 v[124:125], v[12:13], v[30:31]
	v_mul_f64 v[12:13], v[118:119], s[48:49]
	v_fma_f64 v[10:11], v[114:115], s[48:49], -v[10:11]
	v_add_f64 v[100:101], v[100:101], v[108:109]
	v_add_f64 v[92:93], v[72:73], v[92:93]
	v_fma_f64 v[72:73], s[56:57], v[18:19], v[68:69]
	v_fma_f64 v[14:15], s[54:55], v[120:121], v[12:13]
	v_add_f64 v[16:17], v[10:11], v[26:27]
	v_fmac_f64_e32 v[12:13], s[38:39], v[120:121]
	v_mul_f64 v[10:11], v[122:123], s[42:43]
	v_add_f64 v[100:101], v[72:73], v[100:101]
	v_fma_f64 v[66:67], v[34:35], s[52:53], -v[66:67]
	v_mul_f64 v[20:21], v[20:21], s[42:43]
	v_add_f64 v[72:73], v[12:13], v[32:33]
	v_fma_f64 v[12:13], s[20:21], v[114:115], v[10:11]
	v_add_f64 v[84:85], v[66:67], v[84:85]
	v_fma_f64 v[66:67], s[20:21], v[34:35], v[20:21]
	v_mul_f64 v[36:37], v[36:37], s[20:21]
	v_add_f64 v[74:75], v[12:13], v[44:45]
	v_mul_f64 v[12:13], v[118:119], s[20:21]
	v_fma_f64 v[10:11], v[114:115], s[20:21], -v[10:11]
	v_fmac_f64_e32 v[68:69], s[50:51], v[18:19]
	v_add_f64 v[96:97], v[66:67], v[96:97]
	v_fma_f64 v[66:67], s[18:19], v[18:19], v[36:37]
	v_fmac_f64_e32 v[36:37], s[42:43], v[18:19]
	v_fma_f64 v[18:19], s[18:19], v[120:121], v[12:13]
	v_add_f64 v[78:79], v[10:11], v[38:39]
	v_fmac_f64_e32 v[12:13], s[42:43], v[120:121]
	v_mul_f64 v[10:11], v[122:123], s[2:3]
	v_add_f64 v[106:107], v[106:107], v[116:117]
	v_fma_f64 v[20:21], v[34:35], s[20:21], -v[20:21]
	v_add_f64 v[76:77], v[18:19], v[50:51]
	v_add_f64 v[18:19], v[12:13], v[46:47]
	v_fma_f64 v[12:13], s[4:5], v[114:115], v[10:11]
	v_add_f64 v[98:99], v[98:99], v[106:107]
	v_add_f64 v[106:107], v[20:21], v[24:25]
	v_add_f64 v[20:21], v[12:13], v[52:53]
	v_mul_f64 v[12:13], v[118:119], s[4:5]
	v_fma_f64 v[10:11], v[114:115], s[4:5], -v[10:11]
	v_add_f64 v[108:109], v[36:37], v[22:23]
	v_fma_f64 v[22:23], s[40:41], v[120:121], v[12:13]
	v_add_f64 v[32:33], v[10:11], v[48:49]
	v_fmac_f64_e32 v[12:13], s[2:3], v[120:121]
	v_mul_f64 v[10:11], v[122:123], s[46:47]
	v_add_f64 v[14:15], v[14:15], v[40:41]
	v_add_f64 v[40:41], v[12:13], v[54:55]
	v_fma_f64 v[12:13], s[24:25], v[114:115], v[10:11]
	v_add_f64 v[98:99], v[66:67], v[98:99]
	v_add_f64 v[66:67], v[12:13], v[58:59]
	v_mul_f64 v[12:13], v[118:119], s[24:25]
	v_add_f64 v[30:31], v[22:23], v[60:61]
	v_fma_f64 v[22:23], s[22:23], v[120:121], v[12:13]
	v_fma_f64 v[10:11], v[114:115], s[24:25], -v[10:11]
	v_add_f64 v[94:95], v[68:69], v[94:95]
	v_add_f64 v[68:69], v[22:23], v[70:71]
	;; [unrolled: 1-line block ×3, first 2 shown]
	v_fmac_f64_e32 v[12:13], s[46:47], v[120:121]
	v_mul_f64 v[10:11], v[122:123], s[30:31]
	v_add_f64 v[112:113], v[12:13], v[62:63]
	v_fma_f64 v[12:13], s[34:35], v[114:115], v[10:11]
	v_add_f64 v[38:39], v[12:13], v[86:87]
	v_mul_f64 v[12:13], v[118:119], s[34:35]
	v_fma_f64 v[10:11], v[114:115], s[34:35], -v[10:11]
	v_fma_f64 v[22:23], s[36:37], v[120:121], v[12:13]
	v_add_f64 v[24:25], v[10:11], v[64:65]
	v_fmac_f64_e32 v[12:13], s[30:31], v[120:121]
	v_mul_f64 v[10:11], v[122:123], s[50:51]
	v_add_f64 v[34:35], v[12:13], v[102:103]
	v_fma_f64 v[12:13], s[52:53], v[114:115], v[10:11]
	v_add_f64 v[36:37], v[12:13], v[80:81]
	v_mul_f64 v[12:13], v[118:119], s[52:53]
	v_mul_f64 v[48:49], v[118:119], s[28:29]
	v_add_f64 v[60:61], v[4:5], -v[8:9]
	v_fma_f64 v[26:27], s[56:57], v[120:121], v[12:13]
	v_fmac_f64_e32 v[12:13], s[50:51], v[120:121]
	v_mul_f64 v[46:47], v[122:123], s[0:1]
	v_fma_f64 v[44:45], s[26:27], v[120:121], v[48:49]
	v_fmac_f64_e32 v[48:49], s[0:1], v[120:121]
	v_mul_f64 v[52:53], v[122:123], s[6:7]
	v_add_f64 v[56:57], v[2:3], v[6:7]
	v_mul_f64 v[80:81], v[60:61], s[50:51]
	v_add_f64 v[64:65], v[26:27], v[92:93]
	v_fma_f64 v[10:11], v[114:115], s[52:53], -v[10:11]
	v_add_f64 v[12:13], v[12:13], v[82:83]
	v_fma_f64 v[26:27], s[28:29], v[114:115], v[46:47]
	v_fma_f64 v[46:47], v[114:115], s[28:29], -v[46:47]
	v_add_f64 v[116:117], v[48:49], v[94:95]
	v_fma_f64 v[48:49], s[14:15], v[114:115], v[52:53]
	v_fma_f64 v[52:53], v[114:115], s[14:15], -v[52:53]
	v_add_f64 v[114:115], v[2:3], -v[6:7]
	v_fma_f64 v[2:3], s[52:53], v[56:57], v[80:81]
	v_mul_lo_u32 v82, v110, v111
	v_add_f64 v[58:59], v[4:5], v[8:9]
	v_add_f64 v[62:63], v[2:3], v[124:125]
	v_lshlrev_b32_sdwa v2, v153, v82 dst_sel:DWORD dst_unused:UNUSED_PAD src0_sel:DWORD src1_sel:BYTE_0
	v_bfe_u32 v3, v82, 8, 8
	v_bfe_u32 v82, v82, 16, 8
	v_lshl_or_b32 v92, v82, 4, v152
	v_mul_f64 v[82:83], v[58:59], s[52:53]
	v_add_f64 v[46:47], v[46:47], v[84:85]
	v_fma_f64 v[84:85], s[56:57], v[114:115], v[82:83]
	v_add_f64 v[26:27], v[26:27], v[90:91]
	v_add_f64 v[90:91], v[84:85], v[14:15]
	v_fma_f64 v[14:15], v[56:57], s[52:53], -v[80:81]
	v_mul_f64 v[54:55], v[118:119], s[14:15]
	v_add_f64 v[118:119], v[14:15], v[16:17]
	v_fmac_f64_e32 v[82:83], s[50:51], v[114:115]
	v_mul_f64 v[14:15], v[60:61], s[36:37]
	v_fma_f64 v[50:51], s[44:45], v[120:121], v[54:55]
	v_fmac_f64_e32 v[54:55], s[6:7], v[120:121]
	v_add_f64 v[120:121], v[82:83], v[72:73]
	v_fma_f64 v[16:17], s[34:35], v[56:57], v[14:15]
	v_mul_f64 v[72:73], v[58:59], s[34:35]
	v_lshl_or_b32 v6, v3, 4, v154
	v_add_f64 v[86:87], v[16:17], v[74:75]
	v_fma_f64 v[16:17], s[30:31], v[114:115], v[72:73]
	v_fmac_f64_e32 v[72:73], s[36:37], v[114:115]
	global_load_dwordx4 v[2:5], v2, s[16:17]
	s_nop 0
	global_load_dwordx4 v[6:9], v6, s[16:17]
	v_add_f64 v[124:125], v[72:73], v[18:19]
	v_mul_f64 v[18:19], v[60:61], s[38:39]
	v_fma_f64 v[14:15], v[56:57], s[34:35], -v[14:15]
	v_fma_f64 v[72:73], s[48:49], v[56:57], v[18:19]
	v_add_f64 v[22:23], v[22:23], v[88:89]
	v_add_f64 v[88:89], v[16:17], v[76:77]
	;; [unrolled: 1-line block ×3, first 2 shown]
	global_load_dwordx4 v[14:17], v92, s[16:17]
	v_add_f64 v[80:81], v[72:73], v[20:21]
	v_mul_f64 v[20:21], v[58:59], s[48:49]
	v_fma_f64 v[18:19], v[56:57], s[48:49], -v[18:19]
	v_fma_f64 v[72:73], s[54:55], v[114:115], v[20:21]
	v_add_f64 v[126:127], v[18:19], v[32:33]
	v_fmac_f64_e32 v[20:21], s[38:39], v[114:115]
	v_mul_f64 v[18:19], v[60:61], s[0:1]
	v_add_f64 v[128:129], v[20:21], v[40:41]
	v_fma_f64 v[20:21], s[28:29], v[56:57], v[18:19]
	v_mul_f64 v[132:133], v[58:59], s[28:29]
	v_fma_f64 v[18:19], v[56:57], s[28:29], -v[18:19]
	v_add_f64 v[74:75], v[20:21], v[66:67]
	v_fma_f64 v[20:21], s[26:27], v[114:115], v[132:133]
	v_add_f64 v[130:131], v[18:19], v[70:71]
	v_add_u32_e32 v18, 17, v111
	v_add_f64 v[76:77], v[20:21], v[68:69]
	v_mul_lo_u32 v68, v110, v18
	v_add_f64 v[82:83], v[72:73], v[30:31]
	v_bfe_u32 v30, v68, 8, 8
	v_mul_f64 v[66:67], v[60:61], s[22:23]
	v_lshlrev_b32_sdwa v18, v153, v68 dst_sel:DWORD dst_unused:UNUSED_PAD src0_sel:DWORD src1_sel:BYTE_0
	v_lshl_or_b32 v30, v30, 4, v154
	v_fma_f64 v[40:41], s[24:25], v[56:57], v[66:67]
	global_load_dwordx4 v[18:21], v18, s[16:17]
	v_add_f64 v[84:85], v[40:41], v[38:39]
	global_load_dwordx4 v[30:33], v30, s[16:17]
	v_bfe_u32 v38, v68, 16, 8
	v_lshl_or_b32 v38, v38, 4, v152
	global_load_dwordx4 v[38:41], v38, s[16:17]
	v_mul_f64 v[68:69], v[58:59], s[24:25]
	v_fma_f64 v[70:71], s[46:47], v[114:115], v[68:69]
	v_add_f64 v[10:11], v[10:11], v[104:105]
	v_add_f64 v[104:105], v[70:71], v[22:23]
	v_fma_f64 v[22:23], v[56:57], s[24:25], -v[66:67]
	v_add_f64 v[134:135], v[22:23], v[24:25]
	v_mul_f64 v[22:23], v[60:61], s[42:43]
	v_fma_f64 v[24:25], s[20:21], v[56:57], v[22:23]
	v_mul_f64 v[66:67], v[58:59], s[20:21]
	v_add_f64 v[50:51], v[50:51], v[98:99]
	v_add_f64 v[98:99], v[24:25], v[36:37]
	v_fma_f64 v[24:25], s[18:19], v[114:115], v[66:67]
	v_fmac_f64_e32 v[68:69], s[22:23], v[114:115]
	v_add_f64 v[102:103], v[24:25], v[64:65]
	v_fma_f64 v[64:65], v[56:57], s[20:21], -v[22:23]
	v_add_u32_e32 v22, 34, v111
	v_add_f64 v[136:137], v[68:69], v[34:35]
	v_mul_lo_u32 v68, v110, v22
	v_lshlrev_b32_sdwa v69, v153, v68 dst_sel:DWORD dst_unused:UNUSED_PAD src0_sel:DWORD src1_sel:BYTE_0
	v_bfe_u32 v22, v68, 8, 8
	v_lshl_or_b32 v70, v22, 4, v154
	global_load_dwordx4 v[22:25], v69, s[16:17]
	global_load_dwordx4 v[34:37], v70, s[16:17]
	v_add_f64 v[138:139], v[64:65], v[10:11]
	v_fmac_f64_e32 v[66:67], s[42:43], v[114:115]
	v_mul_f64 v[10:11], v[60:61], s[6:7]
	v_add_f64 v[140:141], v[66:67], v[12:13]
	v_fma_f64 v[12:13], s[14:15], v[56:57], v[10:11]
	v_mul_f64 v[146:147], v[58:59], s[14:15]
	v_fma_f64 v[10:11], v[56:57], s[14:15], -v[10:11]
	v_add_f64 v[44:45], v[44:45], v[100:101]
	v_add_f64 v[94:95], v[12:13], v[26:27]
	v_fma_f64 v[12:13], s[44:45], v[114:115], v[146:147]
	v_add_f64 v[142:143], v[10:11], v[46:47]
	v_mul_f64 v[10:11], v[60:61], s[40:41]
	v_add_f64 v[48:49], v[48:49], v[96:97]
	v_add_f64 v[100:101], v[12:13], v[44:45]
	v_fma_f64 v[12:13], s[4:5], v[56:57], v[10:11]
	v_add_f64 v[52:53], v[52:53], v[106:107]
	v_add_f64 v[96:97], v[12:13], v[48:49]
	v_mul_f64 v[12:13], v[58:59], s[4:5]
	v_fma_f64 v[10:11], v[56:57], s[4:5], -v[10:11]
	v_fma_f64 v[26:27], s[2:3], v[114:115], v[12:13]
	v_add_f64 v[144:145], v[10:11], v[52:53]
	s_waitcnt vmcnt(6)
	v_mul_f64 v[10:11], v[4:5], v[8:9]
	v_mul_f64 v[44:45], v[2:3], v[8:9]
	v_add_f64 v[78:79], v[26:27], v[50:51]
	v_fma_f64 v[26:27], v[2:3], v[6:7], -v[10:11]
	v_fmac_f64_e32 v[44:45], v[4:5], v[6:7]
	v_add_u32_e32 v3, 51, v111
	v_bfe_u32 v2, v68, 16, 8
	s_waitcnt vmcnt(5)
	v_mul_f64 v[46:47], v[44:45], v[16:17]
	v_mul_lo_u32 v48, v110, v3
	v_mul_f64 v[16:17], v[26:27], v[16:17]
	v_lshl_or_b32 v2, v2, 4, v152
	v_bfe_u32 v10, v48, 8, 8
	v_fmac_f64_e32 v[16:17], v[14:15], v[44:45]
	v_add_f64 v[54:55], v[54:55], v[108:109]
	v_fmac_f64_e32 v[12:13], s[40:41], v[114:115]
	global_load_dwordx4 v[6:9], v2, s[16:17]
	v_lshl_or_b32 v10, v10, 4, v154
	v_fma_f64 v[46:47], v[14:15], v[26:27], -v[46:47]
	v_mul_f64 v[26:27], v[28:29], v[16:17]
	v_add_f64 v[148:149], v[12:13], v[54:55]
	global_load_dwordx4 v[10:13], v10, s[16:17]
	v_lshlrev_b32_sdwa v2, v153, v48 dst_sel:DWORD dst_unused:UNUSED_PAD src0_sel:DWORD src1_sel:BYTE_0
	v_mul_f64 v[14:15], v[42:43], v[16:17]
	v_fmac_f64_e32 v[26:27], v[42:43], v[46:47]
	v_add_u32_e32 v42, 0x44, v111
	global_load_dwordx4 v[2:5], v2, s[16:17]
	v_mul_lo_u32 v52, v110, v42
	v_fma_f64 v[28:29], v[28:29], v[46:47], -v[14:15]
	v_bfe_u32 v14, v48, 16, 8
	v_bfe_u32 v42, v52, 8, 8
	v_lshl_or_b32 v14, v14, 4, v152
	global_load_dwordx4 v[14:17], v14, s[16:17]
	v_lshlrev_b32_sdwa v50, v153, v52 dst_sel:DWORD dst_unused:UNUSED_PAD src0_sel:DWORD src1_sel:BYTE_0
	v_lshl_or_b32 v51, v42, 4, v154
	global_load_dwordx4 v[42:45], v50, s[16:17]
	global_load_dwordx4 v[46:49], v51, s[16:17]
	s_waitcnt vmcnt(9)
	v_mul_f64 v[50:51], v[20:21], v[32:33]
	v_fma_f64 v[50:51], v[18:19], v[30:31], -v[50:51]
	v_mul_f64 v[18:19], v[18:19], v[32:33]
	v_fmac_f64_e32 v[18:19], v[20:21], v[30:31]
	s_waitcnt vmcnt(8)
	v_mul_f64 v[20:21], v[18:19], v[40:41]
	v_mul_f64 v[40:41], v[50:51], v[40:41]
	v_fma_f64 v[32:33], v[38:39], v[50:51], -v[20:21]
	v_fmac_f64_e32 v[40:41], v[38:39], v[18:19]
	v_bfe_u32 v18, v52, 16, 8
	v_add_u32_e32 v38, 0x55, v111
	v_lshl_or_b32 v18, v18, 4, v152
	v_mul_lo_u32 v38, v110, v38
	global_load_dwordx4 v[18:21], v18, s[16:17]
	v_lshlrev_b32_sdwa v39, v153, v38 dst_sel:DWORD dst_unused:UNUSED_PAD src0_sel:DWORD src1_sel:BYTE_0
	global_load_dwordx4 v[50:53], v39, s[16:17]
	v_bfe_u32 v39, v38, 8, 8
	v_lshl_or_b32 v39, v39, 4, v154
	global_load_dwordx4 v[54:57], v39, s[16:17]
	v_bfe_u32 v38, v38, 16, 8
	v_lshl_or_b32 v38, v38, 4, v152
	global_load_dwordx4 v[58:61], v38, s[16:17]
	v_mul_f64 v[30:31], v[90:91], v[40:41]
	v_mul_f64 v[38:39], v[62:63], v[40:41]
	v_add_u32_e32 v40, 0x66, v111
	v_fmac_f64_e32 v[30:31], v[62:63], v[32:33]
	v_fma_f64 v[32:33], v[90:91], v[32:33], -v[38:39]
	s_waitcnt vmcnt(10)
	v_mul_f64 v[38:39], v[24:25], v[36:37]
	v_mul_lo_u32 v40, v110, v40
	v_fma_f64 v[38:39], v[22:23], v[34:35], -v[38:39]
	v_bfe_u32 v62, v40, 8, 8
	v_mul_f64 v[36:37], v[22:23], v[36:37]
	v_bfe_u32 v22, v40, 16, 8
	v_lshlrev_b32_sdwa v41, v153, v40 dst_sel:DWORD dst_unused:UNUSED_PAD src0_sel:DWORD src1_sel:BYTE_0
	v_lshl_or_b32 v66, v62, 4, v154
	v_lshl_or_b32 v22, v22, 4, v152
	global_load_dwordx4 v[62:65], v41, s[16:17]
	s_nop 0
	global_load_dwordx4 v[66:69], v66, s[16:17]
	v_fmac_f64_e32 v[36:37], v[24:25], v[34:35]
	global_load_dwordx4 v[70:73], v22, s[16:17]
	v_add_u32_e32 v22, 0x77, v111
	v_mul_lo_u32 v34, v110, v22
	v_lshlrev_b32_sdwa v22, v153, v34 dst_sel:DWORD dst_unused:UNUSED_PAD src0_sel:DWORD src1_sel:BYTE_0
	v_bfe_u32 v35, v34, 8, 8
	v_bfe_u32 v34, v34, 16, 8
	v_lshl_or_b32 v34, v34, 4, v152
	global_load_dwordx4 v[22:25], v22, s[16:17]
	v_lshl_or_b32 v35, v35, 4, v154
	global_load_dwordx4 v[156:159], v34, s[16:17]
	v_add_u32_e32 v34, 0x88, v111
	v_mul_lo_u32 v90, v110, v34
	global_load_dwordx4 v[106:109], v35, s[16:17]
	v_bfe_u32 v35, v90, 8, 8
	v_lshlrev_b32_sdwa v34, v153, v90 dst_sel:DWORD dst_unused:UNUSED_PAD src0_sel:DWORD src1_sel:BYTE_0
	v_lshl_or_b32 v35, v35, 4, v154
	global_load_dwordx4 v[160:163], v34, s[16:17]
	global_load_dwordx4 v[164:167], v35, s[16:17]
	v_fmac_f64_e32 v[146:147], s[6:7], v[114:115]
	v_add_f64 v[116:117], v[146:147], v[116:117]
	v_fmac_f64_e32 v[132:133], s[0:1], v[114:115]
	s_movk_i32 s0, 0x121
	v_mul_lo_u16_sdwa v0, v0, s0 dst_sel:DWORD dst_unused:UNUSED_PAD src0_sel:WORD_1 src1_sel:DWORD
	v_add_u32_e32 v0, v111, v0
	s_waitcnt vmcnt(17)
	v_mul_f64 v[34:35], v[36:37], v[8:9]
	v_mul_f64 v[8:9], v[38:39], v[8:9]
	v_fmac_f64_e32 v[8:9], v[6:7], v[36:37]
	v_fma_f64 v[34:35], v[6:7], v[38:39], -v[34:35]
	v_mul_f64 v[38:39], v[88:89], v[8:9]
	v_mul_f64 v[6:7], v[86:87], v[8:9]
	v_fma_f64 v[40:41], v[88:89], v[34:35], -v[6:7]
	v_fmac_f64_e32 v[38:39], v[86:87], v[34:35]
	s_waitcnt vmcnt(15)
	v_mul_f64 v[8:9], v[4:5], v[12:13]
	v_fma_f64 v[8:9], v[2:3], v[10:11], -v[8:9]
	v_mul_f64 v[2:3], v[2:3], v[12:13]
	v_fmac_f64_e32 v[2:3], v[4:5], v[10:11]
	v_add_u32_e32 v10, 0x99, v111
	v_bfe_u32 v4, v90, 16, 8
	v_mul_lo_u32 v34, v110, v10
	v_lshl_or_b32 v4, v4, 4, v152
	s_waitcnt vmcnt(14)
	v_mul_f64 v[6:7], v[8:9], v[16:17]
	v_lshlrev_b32_sdwa v10, v153, v34 dst_sel:DWORD dst_unused:UNUSED_PAD src0_sel:DWORD src1_sel:BYTE_0
	global_load_dwordx4 v[168:171], v4, s[16:17]
	global_load_dwordx4 v[86:89], v10, s[16:17]
	v_mul_f64 v[4:5], v[2:3], v[16:17]
	v_fmac_f64_e32 v[6:7], v[14:15], v[2:3]
	v_fma_f64 v[4:5], v[14:15], v[8:9], -v[4:5]
	v_mul_f64 v[2:3], v[82:83], v[6:7]
	v_mul_f64 v[6:7], v[80:81], v[6:7]
	v_fmac_f64_e32 v[2:3], v[80:81], v[4:5]
	v_fma_f64 v[4:5], v[82:83], v[4:5], -v[6:7]
	s_waitcnt vmcnt(14)
	v_mul_f64 v[6:7], v[44:45], v[48:49]
	v_fma_f64 v[6:7], v[42:43], v[46:47], -v[6:7]
	v_mul_f64 v[8:9], v[42:43], v[48:49]
	v_bfe_u32 v10, v34, 8, 8
	v_fmac_f64_e32 v[8:9], v[44:45], v[46:47]
	v_lshl_or_b32 v10, v10, 4, v154
	s_waitcnt vmcnt(13)
	v_mul_f64 v[12:13], v[6:7], v[20:21]
	global_load_dwordx4 v[90:93], v10, s[16:17]
	v_mul_f64 v[10:11], v[8:9], v[20:21]
	v_fmac_f64_e32 v[12:13], v[18:19], v[8:9]
	v_fma_f64 v[10:11], v[18:19], v[6:7], -v[10:11]
	v_mul_f64 v[6:7], v[76:77], v[12:13]
	v_mul_f64 v[8:9], v[74:75], v[12:13]
	v_fmac_f64_e32 v[6:7], v[74:75], v[10:11]
	v_fma_f64 v[8:9], v[76:77], v[10:11], -v[8:9]
	s_waitcnt vmcnt(12)
	v_mul_f64 v[10:11], v[52:53], v[56:57]
	v_fma_f64 v[10:11], v[50:51], v[54:55], -v[10:11]
	v_mul_f64 v[12:13], v[50:51], v[56:57]
	v_fmac_f64_e32 v[12:13], v[52:53], v[54:55]
	s_waitcnt vmcnt(11)
	v_mul_f64 v[16:17], v[10:11], v[60:61]
	v_mul_f64 v[14:15], v[12:13], v[60:61]
	v_fmac_f64_e32 v[16:17], v[58:59], v[12:13]
	v_fma_f64 v[14:15], v[58:59], v[10:11], -v[14:15]
	v_mul_f64 v[10:11], v[104:105], v[16:17]
	v_mul_f64 v[12:13], v[84:85], v[16:17]
	v_bfe_u32 v16, v34, 16, 8
	v_lshl_or_b32 v16, v16, 4, v152
	global_load_dwordx4 v[34:37], v16, s[16:17]
	v_fma_f64 v[12:13], v[104:105], v[14:15], -v[12:13]
	v_fmac_f64_e32 v[10:11], v[84:85], v[14:15]
	s_waitcnt vmcnt(10)
	v_mul_f64 v[14:15], v[64:65], v[68:69]
	v_fma_f64 v[14:15], v[62:63], v[66:67], -v[14:15]
	v_mul_f64 v[16:17], v[62:63], v[68:69]
	v_fmac_f64_e32 v[16:17], v[64:65], v[66:67]
	s_waitcnt vmcnt(9)
	v_mul_f64 v[20:21], v[14:15], v[72:73]
	v_mul_f64 v[18:19], v[16:17], v[72:73]
	v_fmac_f64_e32 v[20:21], v[70:71], v[16:17]
	v_fma_f64 v[18:19], v[70:71], v[14:15], -v[18:19]
	v_mul_f64 v[14:15], v[102:103], v[20:21]
	v_mul_f64 v[16:17], v[98:99], v[20:21]
	v_fmac_f64_e32 v[14:15], v[98:99], v[18:19]
	v_fma_f64 v[16:17], v[102:103], v[18:19], -v[16:17]
	s_waitcnt vmcnt(6)
	v_mul_f64 v[18:19], v[24:25], v[108:109]
	v_add_u32_e32 v42, 0xaa, v111
	v_fma_f64 v[18:19], v[22:23], v[106:107], -v[18:19]
	v_mul_f64 v[20:21], v[22:23], v[108:109]
	v_mul_lo_u32 v52, v110, v42
	v_fmac_f64_e32 v[20:21], v[24:25], v[106:107]
	v_mul_f64 v[24:25], v[18:19], v[158:159]
	v_bfe_u32 v43, v52, 8, 8
	v_mul_f64 v[22:23], v[20:21], v[158:159]
	v_fmac_f64_e32 v[24:25], v[156:157], v[20:21]
	s_waitcnt vmcnt(4)
	v_mul_f64 v[50:51], v[160:161], v[166:167]
	v_lshlrev_b32_sdwa v42, v153, v52 dst_sel:DWORD dst_unused:UNUSED_PAD src0_sel:DWORD src1_sel:BYTE_0
	v_lshl_or_b32 v46, v43, 4, v154
	v_fma_f64 v[22:23], v[156:157], v[18:19], -v[22:23]
	v_mul_f64 v[18:19], v[100:101], v[24:25]
	v_mul_f64 v[20:21], v[94:95], v[24:25]
	;; [unrolled: 1-line block ×3, first 2 shown]
	v_fmac_f64_e32 v[50:51], v[162:163], v[164:165]
	global_load_dwordx4 v[42:45], v42, s[16:17]
	s_nop 0
	global_load_dwordx4 v[46:49], v46, s[16:17]
	v_fma_f64 v[24:25], v[160:161], v[164:165], -v[24:25]
	v_fma_f64 v[20:21], v[100:101], v[22:23], -v[20:21]
	v_bfe_u32 v52, v52, 16, 8
	v_fmac_f64_e32 v[18:19], v[94:95], v[22:23]
	v_lshl_or_b32 v52, v52, 4, v152
	v_add_u32_e32 v54, 0xbb, v111
	v_mul_lo_u32 v64, v110, v54
	v_bfe_u32 v58, v64, 8, 8
	v_lshlrev_b32_sdwa v54, v153, v64 dst_sel:DWORD dst_unused:UNUSED_PAD src0_sel:DWORD src1_sel:BYTE_0
	v_lshl_or_b32 v58, v58, 4, v154
	s_waitcnt vmcnt(5)
	v_mul_f64 v[22:23], v[50:51], v[170:171]
	v_fma_f64 v[62:63], v[168:169], v[24:25], -v[22:23]
	v_mul_f64 v[24:25], v[24:25], v[170:171]
	v_fmac_f64_e32 v[24:25], v[168:169], v[50:51]
	global_load_dwordx4 v[50:53], v52, s[16:17]
	v_mul_f64 v[22:23], v[78:79], v[24:25]
	global_load_dwordx4 v[54:57], v54, s[16:17]
	v_mul_f64 v[24:25], v[96:97], v[24:25]
	v_fmac_f64_e32 v[22:23], v[96:97], v[62:63]
	global_load_dwordx4 v[58:61], v58, s[16:17]
	v_fma_f64 v[24:25], v[78:79], v[62:63], -v[24:25]
	v_bfe_u32 v62, v64, 16, 8
	v_lshl_or_b32 v62, v62, 4, v152
	global_load_dwordx4 v[62:65], v62, s[16:17]
	v_add_u32_e32 v66, 0xcc, v111
	v_mul_lo_u32 v74, v110, v66
	v_bfe_u32 v67, v74, 8, 8
	v_add_u32_e32 v75, 0xdd, v111
	v_lshlrev_b32_sdwa v66, v153, v74 dst_sel:DWORD dst_unused:UNUSED_PAD src0_sel:DWORD src1_sel:BYTE_0
	v_lshl_or_b32 v70, v67, 4, v154
	v_mul_lo_u32 v96, v110, v75
	global_load_dwordx4 v[66:69], v66, s[16:17]
	s_nop 0
	global_load_dwordx4 v[70:73], v70, s[16:17]
	v_bfe_u32 v74, v74, 16, 8
	v_bfe_u32 v82, v96, 8, 8
	s_waitcnt vmcnt(9)
	v_mul_f64 v[98:99], v[86:87], v[92:93]
	v_mul_f64 v[94:95], v[88:89], v[92:93]
	v_lshl_or_b32 v74, v74, 4, v152
	v_lshl_or_b32 v82, v82, 4, v154
	v_fmac_f64_e32 v[98:99], v[88:89], v[90:91]
	global_load_dwordx4 v[78:81], v74, s[16:17]
	v_fma_f64 v[94:95], v[86:87], v[90:91], -v[94:95]
	global_load_dwordx4 v[82:85], v82, s[16:17]
	v_lshlrev_b32_sdwa v74, v153, v96 dst_sel:DWORD dst_unused:UNUSED_PAD src0_sel:DWORD src1_sel:BYTE_0
	global_load_dwordx4 v[74:77], v74, s[16:17]
	v_add_u32_e32 v90, 0xee, v111
	v_mul_lo_u32 v100, v110, v90
	s_waitcnt vmcnt(11)
	v_mul_f64 v[86:87], v[98:99], v[36:37]
	v_fma_f64 v[150:151], v[34:35], v[94:95], -v[86:87]
	v_bfe_u32 v86, v96, 16, 8
	v_lshl_or_b32 v86, v86, 4, v152
	global_load_dwordx4 v[86:89], v86, s[16:17]
	v_bfe_u32 v91, v100, 8, 8
	v_mul_f64 v[36:37], v[94:95], v[36:37]
	v_lshlrev_b32_sdwa v90, v153, v100 dst_sel:DWORD dst_unused:UNUSED_PAD src0_sel:DWORD src1_sel:BYTE_0
	v_lshl_or_b32 v94, v91, 4, v154
	global_load_dwordx4 v[90:93], v90, s[16:17]
	s_nop 0
	global_load_dwordx4 v[94:97], v94, s[16:17]
	v_fmac_f64_e32 v[36:37], v[34:35], v[98:99]
	v_bfe_u32 v34, v100, 16, 8
	v_lshl_or_b32 v34, v34, 4, v152
	v_add_u32_e32 v102, 0xff, v111
	global_load_dwordx4 v[98:101], v34, s[16:17]
	v_mul_lo_u32 v155, v110, v102
	v_bfe_u32 v106, v155, 8, 8
	v_lshlrev_b32_sdwa v102, v153, v155 dst_sel:DWORD dst_unused:UNUSED_PAD src0_sel:DWORD src1_sel:BYTE_0
	global_load_dwordx4 v[102:105], v102, s[16:17]
	v_lshl_or_b32 v106, v106, 4, v154
	global_load_dwordx4 v[106:109], v106, s[16:17]
	v_bfe_u32 v155, v155, 16, 8
	v_mul_f64 v[34:35], v[148:149], v[36:37]
	v_mul_f64 v[36:37], v[144:145], v[36:37]
	v_lshl_or_b32 v155, v155, 4, v152
	global_load_dwordx4 v[156:159], v155, s[16:17]
	v_fma_f64 v[36:37], v[148:149], v[150:151], -v[36:37]
	v_add_u32_e32 v148, 0x110, v111
	v_mul_lo_u32 v110, v110, v148
	v_lshlrev_b32_sdwa v148, v153, v110 dst_sel:DWORD dst_unused:UNUSED_PAD src0_sel:DWORD src1_sel:BYTE_0
	v_bfe_u32 v149, v110, 8, 8
	v_lshl_or_b32 v149, v149, 4, v154
	global_load_dwordx4 v[160:163], v148, s[16:17]
	global_load_dwordx4 v[164:167], v149, s[16:17]
	v_bfe_u32 v110, v110, 16, 8
	v_lshl_or_b32 v110, v110, 4, v152
	global_load_dwordx4 v[146:149], v110, s[16:17]
	v_fmac_f64_e32 v[34:35], v[144:145], v[150:151]
	s_waitcnt vmcnt(19)
	v_mul_f64 v[144:145], v[44:45], v[48:49]
	v_fma_f64 v[144:145], v[42:43], v[46:47], -v[144:145]
	v_mul_f64 v[42:43], v[42:43], v[48:49]
	v_fmac_f64_e32 v[42:43], v[44:45], v[46:47]
	s_waitcnt vmcnt(18)
	v_mul_f64 v[44:45], v[42:43], v[52:53]
	v_fma_f64 v[46:47], v[50:51], v[144:145], -v[44:45]
	v_mul_f64 v[44:45], v[144:145], v[52:53]
	v_fmac_f64_e32 v[44:45], v[50:51], v[42:43]
	v_mul_f64 v[42:43], v[116:117], v[44:45]
	v_mul_f64 v[44:45], v[142:143], v[44:45]
	v_fma_f64 v[44:45], v[116:117], v[46:47], -v[44:45]
	v_fmac_f64_e32 v[42:43], v[142:143], v[46:47]
	s_waitcnt vmcnt(16)
	v_mul_f64 v[46:47], v[56:57], v[60:61]
	v_fma_f64 v[46:47], v[54:55], v[58:59], -v[46:47]
	v_mul_f64 v[48:49], v[54:55], v[60:61]
	v_fmac_f64_e32 v[48:49], v[56:57], v[58:59]
	s_waitcnt vmcnt(15)
	v_mul_f64 v[52:53], v[46:47], v[64:65]
	v_mul_f64 v[50:51], v[48:49], v[64:65]
	v_fmac_f64_e32 v[52:53], v[62:63], v[48:49]
	v_fma_f64 v[50:51], v[62:63], v[46:47], -v[50:51]
	v_mul_f64 v[46:47], v[140:141], v[52:53]
	v_mul_f64 v[48:49], v[138:139], v[52:53]
	v_fmac_f64_e32 v[46:47], v[138:139], v[50:51]
	v_fma_f64 v[48:49], v[140:141], v[50:51], -v[48:49]
	s_waitcnt vmcnt(13)
	v_mul_f64 v[50:51], v[68:69], v[72:73]
	v_fma_f64 v[50:51], v[66:67], v[70:71], -v[50:51]
	v_mul_f64 v[52:53], v[66:67], v[72:73]
	v_fmac_f64_e32 v[52:53], v[68:69], v[70:71]
	v_add_f64 v[60:61], v[132:133], v[112:113]
	s_waitcnt vmcnt(12)
	v_mul_f64 v[56:57], v[50:51], v[80:81]
	v_mul_f64 v[54:55], v[52:53], v[80:81]
	v_fmac_f64_e32 v[56:57], v[78:79], v[52:53]
	v_fma_f64 v[54:55], v[78:79], v[50:51], -v[54:55]
	s_waitcnt vmcnt(10)
	v_mul_f64 v[58:59], v[74:75], v[84:85]
	v_mul_f64 v[50:51], v[136:137], v[56:57]
	;; [unrolled: 1-line block ×4, first 2 shown]
	v_fmac_f64_e32 v[58:59], v[76:77], v[82:83]
	v_fma_f64 v[56:57], v[74:75], v[82:83], -v[56:57]
	v_fma_f64 v[52:53], v[136:137], v[54:55], -v[52:53]
	v_fmac_f64_e32 v[50:51], v[134:135], v[54:55]
	s_waitcnt vmcnt(9)
	v_mul_f64 v[54:55], v[58:59], v[88:89]
	v_fma_f64 v[62:63], v[86:87], v[56:57], -v[54:55]
	v_mul_f64 v[56:57], v[56:57], v[88:89]
	v_fmac_f64_e32 v[56:57], v[86:87], v[58:59]
	v_mul_f64 v[54:55], v[60:61], v[56:57]
	v_mul_f64 v[56:57], v[130:131], v[56:57]
	s_waitcnt vmcnt(7)
	v_mul_f64 v[58:59], v[92:93], v[96:97]
	v_fma_f64 v[56:57], v[60:61], v[62:63], -v[56:57]
	v_fma_f64 v[58:59], v[90:91], v[94:95], -v[58:59]
	v_mul_f64 v[60:61], v[90:91], v[96:97]
	v_fmac_f64_e32 v[60:61], v[92:93], v[94:95]
	s_waitcnt vmcnt(6)
	v_mul_f64 v[64:65], v[58:59], v[100:101]
	v_fmac_f64_e32 v[54:55], v[130:131], v[62:63]
	v_mul_f64 v[62:63], v[60:61], v[100:101]
	v_fmac_f64_e32 v[64:65], v[98:99], v[60:61]
	v_fma_f64 v[62:63], v[98:99], v[58:59], -v[62:63]
	v_mul_f64 v[58:59], v[128:129], v[64:65]
	v_mul_f64 v[60:61], v[126:127], v[64:65]
	v_fmac_f64_e32 v[58:59], v[126:127], v[62:63]
	v_fma_f64 v[60:61], v[128:129], v[62:63], -v[60:61]
	s_waitcnt vmcnt(4)
	v_mul_f64 v[62:63], v[104:105], v[108:109]
	v_fma_f64 v[62:63], v[102:103], v[106:107], -v[62:63]
	v_mul_f64 v[64:65], v[102:103], v[108:109]
	v_fmac_f64_e32 v[64:65], v[104:105], v[106:107]
	s_waitcnt vmcnt(3)
	v_mul_f64 v[68:69], v[62:63], v[158:159]
	v_mul_f64 v[66:67], v[64:65], v[158:159]
	v_fmac_f64_e32 v[68:69], v[156:157], v[64:65]
	v_fma_f64 v[66:67], v[156:157], v[62:63], -v[66:67]
	v_mul_f64 v[62:63], v[124:125], v[68:69]
	v_mul_f64 v[64:65], v[122:123], v[68:69]
	v_fmac_f64_e32 v[62:63], v[122:123], v[66:67]
	v_fma_f64 v[64:65], v[124:125], v[66:67], -v[64:65]
	s_waitcnt vmcnt(1)
	v_mul_f64 v[66:67], v[162:163], v[166:167]
	v_fma_f64 v[66:67], v[160:161], v[164:165], -v[66:67]
	v_mul_f64 v[68:69], v[160:161], v[166:167]
	v_fmac_f64_e32 v[68:69], v[162:163], v[164:165]
	s_waitcnt vmcnt(0)
	v_mul_f64 v[72:73], v[66:67], v[148:149]
	v_mul_f64 v[70:71], v[68:69], v[148:149]
	v_fmac_f64_e32 v[72:73], v[146:147], v[68:69]
	v_fma_f64 v[70:71], v[146:147], v[66:67], -v[70:71]
	v_mul_f64 v[66:67], v[120:121], v[72:73]
	v_mul_f64 v[68:69], v[118:119], v[72:73]
	v_fmac_f64_e32 v[66:67], v[118:119], v[70:71]
	v_fma_f64 v[68:69], v[120:121], v[70:71], -v[68:69]
	v_mul_lo_u32 v70, s12, v0
	v_add_lshl_u32 v70, v1, v70, 4
	v_cndmask_b32_e32 v70, -1, v70, vcc
	buffer_store_dwordx4 v[26:29], v70, s[8:11], s13 offen
	v_add_u32_e32 v26, 17, v0
	v_mul_lo_u32 v26, s12, v26
	v_add_lshl_u32 v26, v1, v26, 4
	v_cndmask_b32_e32 v26, -1, v26, vcc
	buffer_store_dwordx4 v[30:33], v26, s[8:11], s13 offen
	v_add_u32_e32 v26, 34, v0
	;; [unrolled: 5-line block ×15, first 2 shown]
	v_add_u32_e32 v0, 0x110, v0
	v_mul_lo_u32 v2, s12, v2
	v_mul_lo_u32 v0, s12, v0
	v_add_lshl_u32 v2, v1, v2, 4
	v_add_lshl_u32 v0, v1, v0, 4
	v_cndmask_b32_e32 v2, -1, v2, vcc
	v_cndmask_b32_e32 v0, -1, v0, vcc
	buffer_store_dwordx4 v[62:65], v2, s[8:11], s13 offen
	buffer_store_dwordx4 v[66:69], v0, s[8:11], s13 offen
	s_endpgm
	.section	.rodata,"a",@progbits
	.p2align	6, 0x0
	.amdhsa_kernel fft_rtc_back_len289_factors_17_17_wgs_119_tpt_17_dp_ip_CI_sbcc_twdbase8_3step_dirReg_intrinsicReadWrite
		.amdhsa_group_segment_fixed_size 0
		.amdhsa_private_segment_fixed_size 0
		.amdhsa_kernarg_size 96
		.amdhsa_user_sgpr_count 6
		.amdhsa_user_sgpr_private_segment_buffer 1
		.amdhsa_user_sgpr_dispatch_ptr 0
		.amdhsa_user_sgpr_queue_ptr 0
		.amdhsa_user_sgpr_kernarg_segment_ptr 1
		.amdhsa_user_sgpr_dispatch_id 0
		.amdhsa_user_sgpr_flat_scratch_init 0
		.amdhsa_user_sgpr_kernarg_preload_length 0
		.amdhsa_user_sgpr_kernarg_preload_offset 0
		.amdhsa_user_sgpr_private_segment_size 0
		.amdhsa_uses_dynamic_stack 0
		.amdhsa_system_sgpr_private_segment_wavefront_offset 0
		.amdhsa_system_sgpr_workgroup_id_x 1
		.amdhsa_system_sgpr_workgroup_id_y 0
		.amdhsa_system_sgpr_workgroup_id_z 0
		.amdhsa_system_sgpr_workgroup_info 0
		.amdhsa_system_vgpr_workitem_id 0
		.amdhsa_next_free_vgpr 172
		.amdhsa_next_free_sgpr 60
		.amdhsa_accum_offset 172
		.amdhsa_reserve_vcc 1
		.amdhsa_reserve_flat_scratch 0
		.amdhsa_float_round_mode_32 0
		.amdhsa_float_round_mode_16_64 0
		.amdhsa_float_denorm_mode_32 3
		.amdhsa_float_denorm_mode_16_64 3
		.amdhsa_dx10_clamp 1
		.amdhsa_ieee_mode 1
		.amdhsa_fp16_overflow 0
		.amdhsa_tg_split 0
		.amdhsa_exception_fp_ieee_invalid_op 0
		.amdhsa_exception_fp_denorm_src 0
		.amdhsa_exception_fp_ieee_div_zero 0
		.amdhsa_exception_fp_ieee_overflow 0
		.amdhsa_exception_fp_ieee_underflow 0
		.amdhsa_exception_fp_ieee_inexact 0
		.amdhsa_exception_int_div_zero 0
	.end_amdhsa_kernel
	.text
.Lfunc_end0:
	.size	fft_rtc_back_len289_factors_17_17_wgs_119_tpt_17_dp_ip_CI_sbcc_twdbase8_3step_dirReg_intrinsicReadWrite, .Lfunc_end0-fft_rtc_back_len289_factors_17_17_wgs_119_tpt_17_dp_ip_CI_sbcc_twdbase8_3step_dirReg_intrinsicReadWrite
                                        ; -- End function
	.section	.AMDGPU.csdata,"",@progbits
; Kernel info:
; codeLenInByte = 17896
; NumSgprs: 64
; NumVgprs: 172
; NumAgprs: 0
; TotalNumVgprs: 172
; ScratchSize: 0
; MemoryBound: 0
; FloatMode: 240
; IeeeMode: 1
; LDSByteSize: 0 bytes/workgroup (compile time only)
; SGPRBlocks: 7
; VGPRBlocks: 21
; NumSGPRsForWavesPerEU: 64
; NumVGPRsForWavesPerEU: 172
; AccumOffset: 172
; Occupancy: 2
; WaveLimiterHint : 0
; COMPUTE_PGM_RSRC2:SCRATCH_EN: 0
; COMPUTE_PGM_RSRC2:USER_SGPR: 6
; COMPUTE_PGM_RSRC2:TRAP_HANDLER: 0
; COMPUTE_PGM_RSRC2:TGID_X_EN: 1
; COMPUTE_PGM_RSRC2:TGID_Y_EN: 0
; COMPUTE_PGM_RSRC2:TGID_Z_EN: 0
; COMPUTE_PGM_RSRC2:TIDIG_COMP_CNT: 0
; COMPUTE_PGM_RSRC3_GFX90A:ACCUM_OFFSET: 42
; COMPUTE_PGM_RSRC3_GFX90A:TG_SPLIT: 0
	.text
	.p2alignl 6, 3212836864
	.fill 256, 4, 3212836864
	.type	__hip_cuid_15f8a61fb753005d,@object ; @__hip_cuid_15f8a61fb753005d
	.section	.bss,"aw",@nobits
	.globl	__hip_cuid_15f8a61fb753005d
__hip_cuid_15f8a61fb753005d:
	.byte	0                               ; 0x0
	.size	__hip_cuid_15f8a61fb753005d, 1

	.ident	"AMD clang version 19.0.0git (https://github.com/RadeonOpenCompute/llvm-project roc-6.4.0 25133 c7fe45cf4b819c5991fe208aaa96edf142730f1d)"
	.section	".note.GNU-stack","",@progbits
	.addrsig
	.addrsig_sym __hip_cuid_15f8a61fb753005d
	.amdgpu_metadata
---
amdhsa.kernels:
  - .agpr_count:     0
    .args:
      - .actual_access:  read_only
        .address_space:  global
        .offset:         0
        .size:           8
        .value_kind:     global_buffer
      - .address_space:  global
        .offset:         8
        .size:           8
        .value_kind:     global_buffer
      - .offset:         16
        .size:           8
        .value_kind:     by_value
      - .actual_access:  read_only
        .address_space:  global
        .offset:         24
        .size:           8
        .value_kind:     global_buffer
      - .actual_access:  read_only
        .address_space:  global
        .offset:         32
        .size:           8
        .value_kind:     global_buffer
      - .offset:         40
        .size:           8
        .value_kind:     by_value
      - .actual_access:  read_only
        .address_space:  global
        .offset:         48
        .size:           8
        .value_kind:     global_buffer
      - .actual_access:  read_only
        .address_space:  global
        .offset:         56
        .size:           8
        .value_kind:     global_buffer
      - .offset:         64
        .size:           4
        .value_kind:     by_value
      - .actual_access:  read_only
        .address_space:  global
        .offset:         72
        .size:           8
        .value_kind:     global_buffer
      - .actual_access:  read_only
        .address_space:  global
        .offset:         80
        .size:           8
        .value_kind:     global_buffer
      - .address_space:  global
        .offset:         88
        .size:           8
        .value_kind:     global_buffer
    .group_segment_fixed_size: 0
    .kernarg_segment_align: 8
    .kernarg_segment_size: 96
    .language:       OpenCL C
    .language_version:
      - 2
      - 0
    .max_flat_workgroup_size: 119
    .name:           fft_rtc_back_len289_factors_17_17_wgs_119_tpt_17_dp_ip_CI_sbcc_twdbase8_3step_dirReg_intrinsicReadWrite
    .private_segment_fixed_size: 0
    .sgpr_count:     64
    .sgpr_spill_count: 0
    .symbol:         fft_rtc_back_len289_factors_17_17_wgs_119_tpt_17_dp_ip_CI_sbcc_twdbase8_3step_dirReg_intrinsicReadWrite.kd
    .uniform_work_group_size: 1
    .uses_dynamic_stack: false
    .vgpr_count:     172
    .vgpr_spill_count: 0
    .wavefront_size: 64
amdhsa.target:   amdgcn-amd-amdhsa--gfx90a
amdhsa.version:
  - 1
  - 2
...

	.end_amdgpu_metadata
